;; amdgpu-corpus repo=ROCm/rocFFT kind=compiled arch=gfx1201 opt=O3
	.text
	.amdgcn_target "amdgcn-amd-amdhsa--gfx1201"
	.amdhsa_code_object_version 6
	.protected	bluestein_single_fwd_len850_dim1_half_op_CI_CI ; -- Begin function bluestein_single_fwd_len850_dim1_half_op_CI_CI
	.globl	bluestein_single_fwd_len850_dim1_half_op_CI_CI
	.p2align	8
	.type	bluestein_single_fwd_len850_dim1_half_op_CI_CI,@function
bluestein_single_fwd_len850_dim1_half_op_CI_CI: ; @bluestein_single_fwd_len850_dim1_half_op_CI_CI
; %bb.0:
	s_load_b128 s[12:15], s[0:1], 0x28
	v_mul_u32_u24_e32 v1, 0x304, v0
	s_mov_b32 s2, exec_lo
	v_mov_b32_e32 v25, 0
	s_delay_alu instid0(VALU_DEP_2) | instskip(NEXT) | instid1(VALU_DEP_1)
	v_lshrrev_b32_e32 v1, 16, v1
	v_add_nc_u32_e32 v24, ttmp9, v1
	s_wait_kmcnt 0x0
	s_delay_alu instid0(VALU_DEP_1)
	v_cmpx_gt_u64_e64 s[12:13], v[24:25]
	s_cbranch_execz .LBB0_10
; %bb.1:
	s_clause 0x1
	s_load_b128 s[8:11], s[0:1], 0x18
	s_load_b128 s[4:7], s[0:1], 0x0
	v_mul_lo_u16 v1, 0x55, v1
	s_load_b64 s[12:13], s[0:1], 0x38
	s_delay_alu instid0(VALU_DEP_1) | instskip(NEXT) | instid1(VALU_DEP_1)
	v_sub_nc_u16 v8, v0, v1
	v_and_b32_e32 v89, 0xffff, v8
	v_add_nc_u16 v16, v8, 0x55
	s_delay_alu instid0(VALU_DEP_2)
	v_lshlrev_b32_e32 v38, 2, v89
	s_wait_kmcnt 0x0
	s_load_b128 s[16:19], s[8:9], 0x0
	s_clause 0x9
	global_load_b32 v52, v38, s[4:5]
	global_load_b32 v53, v38, s[4:5] offset:340
	global_load_b32 v51, v38, s[4:5] offset:680
	;; [unrolled: 1-line block ×9, first 2 shown]
	v_add_nc_u32_e32 v11, 0x400, v38
	v_add_nc_u32_e32 v10, 0x600, v38
	;; [unrolled: 1-line block ×3, first 2 shown]
	s_wait_kmcnt 0x0
	v_mad_co_u64_u32 v[0:1], null, s18, v24, 0
	v_mad_co_u64_u32 v[2:3], null, s16, v89, 0
	s_mul_u64 s[2:3], s[16:17], 0x154
	s_delay_alu instid0(VALU_DEP_1) | instskip(NEXT) | instid1(VALU_DEP_1)
	v_mad_co_u64_u32 v[4:5], null, s19, v24, v[1:2]
	v_mad_co_u64_u32 v[5:6], null, s17, v89, v[3:4]
	v_mov_b32_e32 v1, v4
	s_delay_alu instid0(VALU_DEP_1) | instskip(NEXT) | instid1(VALU_DEP_3)
	v_lshlrev_b64_e32 v[0:1], 2, v[0:1]
	v_mov_b32_e32 v3, v5
	s_delay_alu instid0(VALU_DEP_2) | instskip(NEXT) | instid1(VALU_DEP_2)
	v_add_co_u32 v0, vcc_lo, s14, v0
	v_lshlrev_b64_e32 v[2:3], 2, v[2:3]
	s_delay_alu instid0(VALU_DEP_4) | instskip(NEXT) | instid1(VALU_DEP_2)
	v_add_co_ci_u32_e32 v1, vcc_lo, s15, v1, vcc_lo
	v_add_co_u32 v0, vcc_lo, v0, v2
	s_wait_alu 0xfffd
	s_delay_alu instid0(VALU_DEP_2) | instskip(NEXT) | instid1(VALU_DEP_2)
	v_add_co_ci_u32_e32 v1, vcc_lo, v1, v3, vcc_lo
	v_add_co_u32 v2, vcc_lo, v0, s2
	s_wait_alu 0xfffd
	s_delay_alu instid0(VALU_DEP_2)
	v_add_co_ci_u32_e32 v3, vcc_lo, s3, v1, vcc_lo
	s_clause 0x1
	global_load_b32 v4, v[0:1], off
	global_load_b32 v5, v[2:3], off
	v_add_co_u32 v0, vcc_lo, v2, s2
	s_wait_alu 0xfffd
	v_add_co_ci_u32_e32 v1, vcc_lo, s3, v3, vcc_lo
	s_delay_alu instid0(VALU_DEP_2) | instskip(SKIP_1) | instid1(VALU_DEP_2)
	v_add_co_u32 v2, vcc_lo, v0, s2
	s_wait_alu 0xfffd
	v_add_co_ci_u32_e32 v3, vcc_lo, s3, v1, vcc_lo
	s_clause 0x1
	global_load_b32 v6, v[0:1], off
	global_load_b32 v7, v[2:3], off
	v_add_co_u32 v0, vcc_lo, v2, s2
	s_wait_alu 0xfffd
	v_add_co_ci_u32_e32 v1, vcc_lo, s3, v3, vcc_lo
	s_delay_alu instid0(VALU_DEP_2) | instskip(SKIP_1) | instid1(VALU_DEP_2)
	v_add_co_u32 v2, vcc_lo, v0, s2
	s_wait_alu 0xfffd
	v_add_co_ci_u32_e32 v3, vcc_lo, s3, v1, vcc_lo
	global_load_b32 v12, v[0:1], off
	v_add_co_u32 v0, vcc_lo, v2, s2
	s_wait_alu 0xfffd
	v_add_co_ci_u32_e32 v1, vcc_lo, s3, v3, vcc_lo
	global_load_b32 v13, v[2:3], off
	;; [unrolled: 4-line block ×5, first 2 shown]
	global_load_b32 v1, v[2:3], off
	v_and_b32_e32 v2, 0xff, v8
	v_and_b32_e32 v3, 0xff, v16
	s_load_b128 s[8:11], s[10:11], 0x0
	v_cmp_gt_u16_e32 vcc_lo, 50, v8
	s_delay_alu instid0(VALU_DEP_3) | instskip(NEXT) | instid1(VALU_DEP_3)
	v_mul_lo_u16 v2, 0xcd, v2
	v_mul_lo_u16 v3, 0xcd, v3
	s_delay_alu instid0(VALU_DEP_2) | instskip(NEXT) | instid1(VALU_DEP_2)
	v_lshrrev_b16 v17, 11, v2
	v_lshrrev_b16 v18, 11, v3
	s_delay_alu instid0(VALU_DEP_2) | instskip(NEXT) | instid1(VALU_DEP_2)
	v_mul_lo_u16 v19, v17, 10
	v_mul_lo_u16 v20, v18, 10
	s_wait_loadcnt 0x13
	v_lshrrev_b32_e32 v21, 16, v52
	s_wait_loadcnt 0x12
	v_lshrrev_b32_e32 v33, 16, v53
	;; [unrolled: 2-line block ×8, first 2 shown]
	v_lshrrev_b32_e32 v26, 16, v40
	s_wait_loadcnt 0xa
	v_lshrrev_b32_e32 v29, 16, v37
	s_wait_loadcnt 0x9
	v_lshrrev_b32_e32 v2, 16, v4
	v_mul_f16_e32 v3, v21, v4
	s_wait_loadcnt 0x8
	v_lshrrev_b32_e32 v22, 16, v5
	v_mul_f16_e32 v23, v33, v5
	v_mul_f16_e32 v21, v21, v2
	v_fma_f16 v2, v52, v2, -v3
	s_delay_alu instid0(VALU_DEP_4) | instskip(NEXT) | instid1(VALU_DEP_4)
	v_mul_f16_e32 v3, v33, v22
	v_fma_f16 v22, v53, v22, -v23
	s_delay_alu instid0(VALU_DEP_4) | instskip(NEXT) | instid1(VALU_DEP_3)
	v_fmac_f16_e32 v21, v52, v4
	v_fmac_f16_e32 v3, v53, v5
	s_wait_loadcnt 0x7
	v_lshrrev_b32_e32 v4, 16, v6
	v_mul_f16_e32 v23, v32, v6
	v_pack_b32_f16 v2, v21, v2
	s_wait_loadcnt 0x6
	v_lshrrev_b32_e32 v21, 16, v7
	v_pack_b32_f16 v3, v3, v22
	v_mul_f16_e32 v5, v32, v4
	v_fma_f16 v4, v51, v4, -v23
	v_mul_f16_e32 v23, v25, v7
	s_delay_alu instid0(VALU_DEP_3)
	v_fmac_f16_e32 v5, v51, v6
	v_mul_f16_e32 v6, v25, v21
	s_wait_loadcnt 0x5
	v_lshrrev_b32_e32 v22, 16, v12
	v_mul_f16_e32 v25, v31, v12
	v_fma_f16 v21, v48, v21, -v23
	v_pack_b32_f16 v4, v5, v4
	v_fmac_f16_e32 v6, v48, v7
	v_mul_f16_e32 v5, v31, v22
	v_fma_f16 v7, v46, v22, -v25
	s_wait_loadcnt 0x4
	v_lshrrev_b32_e32 v22, 16, v13
	v_mul_f16_e32 v23, v30, v13
	v_pack_b32_f16 v6, v6, v21
	v_fmac_f16_e32 v5, v46, v12
	s_wait_loadcnt 0x3
	v_lshrrev_b32_e32 v12, 16, v14
	v_mul_f16_e32 v21, v30, v22
	v_fma_f16 v22, v44, v22, -v23
	v_mul_f16_e32 v23, v28, v14
	v_pack_b32_f16 v5, v5, v7
	v_mul_f16_e32 v7, v28, v12
	v_fmac_f16_e32 v21, v44, v13
	s_wait_loadcnt 0x2
	v_lshrrev_b32_e32 v13, 16, v15
	v_fma_f16 v12, v42, v12, -v23
	v_mul_f16_e32 v23, v26, v15
	v_fmac_f16_e32 v7, v42, v14
	s_wait_loadcnt 0x1
	v_lshrrev_b32_e32 v14, 16, v0
	v_mul_f16_e32 v25, v26, v13
	s_wait_loadcnt 0x0
	v_lshrrev_b32_e32 v26, 16, v1
	v_fma_f16 v13, v40, v13, -v23
	v_mul_f16_e32 v23, v27, v0
	v_mul_f16_e32 v27, v27, v14
	;; [unrolled: 1-line block ×4, first 2 shown]
	v_fmac_f16_e32 v25, v40, v15
	v_fma_f16 v14, v39, v14, -v23
	v_fmac_f16_e32 v27, v39, v0
	v_fma_f16 v0, v37, v26, -v28
	v_fmac_f16_e32 v29, v37, v1
	v_pack_b32_f16 v1, v21, v22
	v_pack_b32_f16 v7, v7, v12
	;; [unrolled: 1-line block ×5, first 2 shown]
	ds_store_2addr_b32 v38, v2, v3 offset1:85
	ds_store_2addr_b32 v38, v4, v6 offset0:170 offset1:255
	ds_store_2addr_b32 v11, v5, v1 offset0:84 offset1:169
	;; [unrolled: 1-line block ×4, first 2 shown]
	v_mul_lo_u16 v12, v8, 10
	global_wb scope:SCOPE_SE
	s_wait_dscnt 0x0
	s_wait_kmcnt 0x0
	s_barrier_signal -1
	s_barrier_wait -1
	global_inv scope:SCOPE_SE
	ds_load_2addr_b32 v[0:1], v11 offset0:84 offset1:169
	ds_load_2addr_b32 v[2:3], v10 offset0:126 offset1:211
	ds_load_2addr_b32 v[4:5], v38 offset0:170 offset1:255
	ds_load_2addr_b32 v[6:7], v9 offset0:168 offset1:253
	v_sub_nc_u16 v15, v16, v20
	v_and_b32_e32 v16, 0xffff, v12
	ds_load_2addr_b32 v[12:13], v38 offset1:85
	v_sub_nc_u16 v14, v8, v19
	global_wb scope:SCOPE_SE
	s_wait_dscnt 0x0
	v_and_b32_e32 v23, 0xff, v15
	v_lshlrev_b32_e32 v61, 2, v16
	s_barrier_signal -1
	v_and_b32_e32 v14, 0xff, v14
	s_barrier_wait -1
	v_lshlrev_b32_e32 v16, 4, v23
	global_inv scope:SCOPE_SE
	v_lshlrev_b32_e32 v15, 4, v14
	v_lshrrev_b32_e32 v22, 16, v0
	v_add_f16_e32 v19, v0, v2
	v_lshrrev_b32_e32 v20, 16, v4
	v_lshrrev_b32_e32 v21, 16, v6
	;; [unrolled: 1-line block ×3, first 2 shown]
	v_sub_f16_e32 v26, v6, v2
	v_sub_f16_e32 v27, v4, v0
	v_add_f16_e32 v28, v4, v6
	v_sub_f16_e32 v29, v2, v6
	v_sub_f16_e32 v30, v0, v4
	v_pk_add_f16 v31, v12, v4
	v_add_f16_e32 v34, v1, v3
	v_lshrrev_b32_e32 v35, 16, v5
	v_lshrrev_b32_e32 v36, 16, v7
	;; [unrolled: 1-line block ×4, first 2 shown]
	v_add_f16_e32 v49, v5, v7
	v_pk_add_f16 v55, v13, v5
	v_lshrrev_b32_e32 v32, 16, v12
	v_sub_f16_e32 v33, v0, v2
	v_sub_f16_e32 v45, v7, v3
	;; [unrolled: 1-line block ×5, first 2 shown]
	v_lshrrev_b32_e32 v56, 16, v13
	v_sub_f16_e32 v57, v1, v3
	v_fma_f16 v19, -0.5, v19, v12
	v_sub_f16_e32 v58, v20, v21
	v_sub_f16_e32 v59, v22, v25
	v_add_f16_e32 v26, v27, v26
	v_fma_f16 v12, -0.5, v28, v12
	v_add_f16_e32 v27, v30, v29
	v_pk_add_f16 v0, v31, v0
	v_add_f16_e32 v28, v22, v25
	v_sub_f16_e32 v29, v20, v22
	v_sub_f16_e32 v30, v21, v25
	v_add_f16_e32 v31, v20, v21
	v_sub_f16_e32 v20, v22, v20
	v_sub_f16_e32 v21, v25, v21
	v_fma_f16 v22, -0.5, v34, v13
	v_sub_f16_e32 v25, v35, v36
	v_sub_f16_e32 v34, v41, v43
	v_fma_f16 v13, -0.5, v49, v13
	v_pk_add_f16 v1, v55, v1
	v_add_f16_e32 v49, v41, v43
	v_add_f16_e32 v55, v35, v36
	v_sub_f16_e32 v5, v5, v7
	v_add_f16_e32 v45, v47, v45
	v_add_f16_e32 v47, v54, v50
	v_sub_f16_e32 v50, v35, v41
	v_sub_f16_e32 v54, v36, v43
	;; [unrolled: 1-line block ×4, first 2 shown]
	v_pk_add_f16 v0, v0, v2
	v_fma_f16 v2, -0.5, v28, v32
	v_add_f16_e32 v28, v29, v30
	v_fmac_f16_e32 v32, -0.5, v31
	v_add_f16_e32 v20, v20, v21
	v_fmamk_f16 v21, v25, 0x3b9c, v22
	v_fmamk_f16 v29, v34, 0xbb9c, v13
	v_fmac_f16_e32 v13, 0x3b9c, v34
	v_pk_add_f16 v1, v1, v3
	v_fma_f16 v30, -0.5, v49, v56
	v_fmac_f16_e32 v56, -0.5, v55
	v_sub_f16_e32 v4, v4, v6
	v_fmac_f16_e32 v22, 0xbb9c, v25
	v_add_f16_e32 v35, v35, v36
	v_fmamk_f16 v36, v33, 0x3b9c, v32
	v_fmac_f16_e32 v32, 0xbb9c, v33
	v_fmac_f16_e32 v21, 0x38b4, v34
	;; [unrolled: 1-line block ×4, first 2 shown]
	v_pk_add_f16 v1, v1, v7
	v_fmamk_f16 v7, v5, 0xbb9c, v30
	v_fmamk_f16 v25, v57, 0x3b9c, v56
	v_fmac_f16_e32 v56, 0xbb9c, v57
	v_fmac_f16_e32 v30, 0x3b9c, v5
	v_fmamk_f16 v41, v58, 0x3b9c, v19
	v_fmac_f16_e32 v19, 0xbb9c, v58
	v_add_f16_e32 v31, v50, v54
	v_pk_add_f16 v3, v0, v6
	v_fmac_f16_e32 v36, 0xb8b4, v4
	v_fmac_f16_e32 v32, 0x38b4, v4
	;; [unrolled: 1-line block ×9, first 2 shown]
	v_fmamk_f16 v43, v59, 0xbb9c, v12
	v_fmac_f16_e32 v12, 0x3b9c, v59
	v_fmac_f16_e32 v41, 0x38b4, v59
	;; [unrolled: 1-line block ×3, first 2 shown]
	v_fmamk_f16 v6, v4, 0xbb9c, v2
	v_fmac_f16_e32 v13, 0x34f2, v47
	v_pk_add_f16 v0, v3, v1
	v_pk_add_f16 v3, v3, v1 neg_lo:[0,1] neg_hi:[0,1]
	v_fmac_f16_e32 v36, 0x34f2, v20
	v_fmac_f16_e32 v32, 0x34f2, v20
	;; [unrolled: 1-line block ×5, first 2 shown]
	v_mul_f16_e32 v1, 0x3a79, v21
	v_mul_f16_e32 v20, 0xb8b4, v21
	v_fmac_f16_e32 v2, 0x3b9c, v4
	v_fmac_f16_e32 v22, 0x34f2, v45
	;; [unrolled: 1-line block ×3, first 2 shown]
	v_mul_f16_e32 v21, 0xbb9c, v29
	v_fmac_f16_e32 v43, 0x38b4, v58
	v_fmac_f16_e32 v12, 0xb8b4, v58
	;; [unrolled: 1-line block ×5, first 2 shown]
	v_mul_f16_e32 v4, 0x34f2, v13
	v_fmac_f16_e32 v1, 0x38b4, v7
	v_mul_f16_e32 v26, 0x3b9c, v25
	v_fmac_f16_e32 v20, 0x3a79, v7
	;; [unrolled: 2-line block ×5, first 2 shown]
	v_fmac_f16_e32 v12, 0x34f2, v27
	v_fmac_f16_e32 v6, 0x34f2, v28
	v_fma_f16 v4, v56, 0x3b9c, -v4
	v_fmac_f16_e32 v26, 0x34f2, v29
	v_fma_f16 v7, v13, 0xbb9c, -v7
	;; [unrolled: 2-line block ×3, first 2 shown]
	v_fma_f16 v13, v22, 0xb8b4, -v25
	v_add_f16_e32 v27, v41, v1
	v_add_f16_e32 v28, v12, v4
	;; [unrolled: 1-line block ×4, first 2 shown]
	v_sub_f16_e32 v12, v12, v4
	v_sub_f16_e32 v4, v6, v20
	v_add_f16_e32 v6, v43, v26
	v_add_f16_e32 v20, v32, v7
	v_add_f16_e32 v29, v19, v5
	v_sub_f16_e32 v22, v41, v1
	v_sub_f16_e32 v19, v19, v5
	;; [unrolled: 1-line block ×3, first 2 shown]
	v_add_f16_e32 v21, v2, v13
	v_sub_f16_e32 v25, v43, v26
	v_sub_f16_e32 v26, v32, v7
	v_sub_f16_e32 v13, v2, v13
	v_pack_b32_f16 v1, v27, v30
	v_pack_b32_f16 v7, v28, v20
	;; [unrolled: 1-line block ×8, first 2 shown]
	ds_store_2addr_b64 v61, v[0:1], v[6:7] offset1:1
	ds_store_2addr_b64 v61, v[2:3], v[4:5] offset0:2 offset1:3
	ds_store_b64 v61, v[12:13] offset:32
	global_wb scope:SCOPE_SE
	s_wait_dscnt 0x0
	s_barrier_signal -1
	s_barrier_wait -1
	global_inv scope:SCOPE_SE
	s_clause 0x1
	global_load_b128 v[4:7], v15, s[6:7]
	global_load_b128 v[0:3], v16, s[6:7]
	v_and_b32_e32 v25, 0xffff, v17
	v_and_b32_e32 v26, 0xffff, v18
	ds_load_2addr_b32 v[15:16], v38 offset1:85
	ds_load_2addr_b32 v[12:13], v38 offset0:170 offset1:255
	ds_load_2addr_b32 v[17:18], v11 offset0:84 offset1:169
	ds_load_2addr_b32 v[19:20], v10 offset0:126 offset1:211
	ds_load_2addr_b32 v[21:22], v9 offset0:168 offset1:253
	v_add_co_u32 v31, s0, s4, v38
	v_mul_u32_u24_e32 v8, 50, v25
	v_mul_u32_u24_e32 v25, 50, v26
	s_wait_alu 0xf1ff
	v_add_co_ci_u32_e64 v32, null, s5, 0, s0
	global_wb scope:SCOPE_SE
	s_wait_loadcnt_dscnt 0x0
	v_add_lshl_u32 v60, v8, v14, 2
	v_add_lshl_u32 v59, v25, v23, 2
	s_barrier_signal -1
	s_barrier_wait -1
	global_inv scope:SCOPE_SE
	v_lshrrev_b32_e32 v41, 16, v15
	v_lshrrev_b32_e32 v8, 16, v12
	;; [unrolled: 1-line block ×18, first 2 shown]
	v_mul_f16_e32 v30, v8, v69
	v_mul_f16_e32 v33, v12, v69
	;; [unrolled: 1-line block ×16, first 2 shown]
	v_fma_f16 v12, v12, v4, -v30
	v_fmac_f16_e32 v33, v8, v4
	v_fma_f16 v8, v17, v5, -v34
	v_fmac_f16_e32 v35, v14, v5
	;; [unrolled: 2-line block ×8, first 2 shown]
	v_add_f16_e32 v19, v15, v12
	v_add_f16_e32 v21, v8, v14
	v_sub_f16_e32 v22, v12, v8
	v_sub_f16_e32 v26, v23, v14
	;; [unrolled: 1-line block ×4, first 2 shown]
	v_add_f16_e32 v34, v41, v33
	v_add_f16_e32 v36, v35, v45
	v_sub_f16_e32 v47, v33, v35
	v_sub_f16_e32 v49, v56, v45
	v_add_f16_e32 v72, v16, v13
	v_add_f16_e32 v73, v17, v18
	;; [unrolled: 1-line block ×7, first 2 shown]
	v_sub_f16_e32 v25, v33, v56
	v_sub_f16_e32 v27, v35, v45
	;; [unrolled: 1-line block ×8, first 2 shown]
	v_add_f16_e32 v81, v43, v50
	v_sub_f16_e32 v83, v17, v18
	v_add_f16_e32 v8, v19, v8
	v_add_f16_e32 v88, v22, v26
	;; [unrolled: 1-line block ×5, first 2 shown]
	v_fma_f16 v47, -0.5, v36, v41
	v_add_f16_e32 v17, v72, v17
	v_fma_f16 v26, -0.5, v73, v16
	v_fmac_f16_e32 v16, -0.5, v78
	v_fma_f16 v19, -0.5, v21, v15
	v_fma_f16 v49, -0.5, v82, v43
	v_fmac_f16_e32 v43, -0.5, v86
	v_sub_f16_e32 v74, v50, v71
	v_sub_f16_e32 v84, v50, v55
	;; [unrolled: 1-line block ×4, first 2 shown]
	v_fmac_f16_e32 v41, -0.5, v54
	v_fma_f16 v22, -0.5, v28, v15
	v_sub_f16_e32 v13, v13, v20
	v_sub_f16_e32 v70, v45, v56
	;; [unrolled: 1-line block ×4, first 2 shown]
	v_add_f16_e32 v15, v81, v55
	v_add_f16_e32 v8, v8, v14
	v_fmamk_f16 v34, v25, 0x3b9c, v19
	v_add_f16_e32 v14, v30, v45
	v_fmamk_f16 v45, v12, 0xbb9c, v47
	;; [unrolled: 2-line block ×3, first 2 shown]
	v_fmac_f16_e32 v16, 0x3b9c, v75
	v_fmamk_f16 v55, v83, 0x3b9c, v43
	v_fmac_f16_e32 v43, 0xbb9c, v83
	v_add_f16_e32 v73, v50, v87
	v_fmamk_f16 v21, v27, 0xbb9c, v22
	v_fmac_f16_e32 v22, 0x3b9c, v27
	v_fmamk_f16 v50, v57, 0x3b9c, v41
	v_fmac_f16_e32 v41, 0xbb9c, v57
	v_fmac_f16_e32 v19, 0xbb9c, v25
	;; [unrolled: 1-line block ×3, first 2 shown]
	v_sub_f16_e32 v85, v71, v58
	v_fmamk_f16 v17, v74, 0x3b9c, v26
	v_fmamk_f16 v54, v13, 0xbb9c, v49
	v_fmac_f16_e32 v26, 0xbb9c, v74
	v_fmac_f16_e32 v49, 0x3b9c, v13
	v_add_f16_e32 v72, v79, v80
	v_fmac_f16_e32 v34, 0x38b4, v27
	v_fmac_f16_e32 v45, 0xb8b4, v57
	;; [unrolled: 1-line block ×4, first 2 shown]
	v_add_f16_e32 v36, v33, v70
	v_fmac_f16_e32 v21, 0x38b4, v25
	v_fmac_f16_e32 v22, 0xb8b4, v25
	;; [unrolled: 1-line block ×6, first 2 shown]
	v_add_f16_e32 v70, v76, v77
	v_add_f16_e32 v28, v84, v85
	;; [unrolled: 1-line block ×3, first 2 shown]
	v_fmac_f16_e32 v17, 0x38b4, v75
	v_fmac_f16_e32 v54, 0xb8b4, v83
	v_fmac_f16_e32 v26, 0xb8b4, v75
	v_fmac_f16_e32 v18, 0x38b4, v74
	v_fmac_f16_e32 v49, 0x38b4, v83
	v_fmac_f16_e32 v55, 0xb8b4, v13
	v_add_f16_e32 v33, v8, v23
	v_add_f16_e32 v92, v14, v56
	v_fmac_f16_e32 v34, 0x34f2, v88
	v_fmac_f16_e32 v45, 0x34f2, v35
	;; [unrolled: 1-line block ×10, first 2 shown]
	v_add_f16_e32 v20, v30, v20
	v_add_f16_e32 v56, v15, v71
	v_fmac_f16_e32 v17, 0x34f2, v70
	v_fmac_f16_e32 v54, 0x34f2, v28
	;; [unrolled: 1-line block ×6, first 2 shown]
	v_pack_b32_f16 v8, v33, v92
	v_pack_b32_f16 v13, v34, v45
	;; [unrolled: 1-line block ×10, first 2 shown]
	ds_store_2addr_b32 v60, v8, v13 offset1:10
	ds_store_2addr_b32 v60, v14, v15 offset0:20 offset1:30
	ds_store_b32 v60, v23 offset:160
	ds_store_2addr_b32 v59, v12, v25 offset1:10
	ds_store_2addr_b32 v59, v27, v28 offset0:20 offset1:30
	ds_store_b32 v59, v29 offset:160
	global_wb scope:SCOPE_SE
	s_wait_dscnt 0x0
	s_barrier_signal -1
	s_barrier_wait -1
	global_inv scope:SCOPE_SE
                                        ; implicit-def: $vgpr27
                                        ; implicit-def: $vgpr58
                                        ; implicit-def: $vgpr70
                                        ; implicit-def: $vgpr35
                                        ; implicit-def: $vgpr82
                                        ; implicit-def: $vgpr84
                                        ; implicit-def: $vgpr29
                                        ; implicit-def: $vgpr83
                                        ; implicit-def: $vgpr85
                                        ; implicit-def: $vgpr57
                                        ; implicit-def: $vgpr86
	s_and_saveexec_b32 s0, vcc_lo
	s_cbranch_execz .LBB0_3
; %bb.2:
	ds_load_2addr_b32 v[33:34], v38 offset1:50
	ds_load_2addr_b32 v[21:22], v38 offset0:100 offset1:150
	ds_load_2addr_b32 v[19:20], v38 offset0:200 offset1:250
	;; [unrolled: 1-line block ×7, first 2 shown]
	ds_load_b32 v57, v38 offset:3200
	s_wait_dscnt 0x8
	v_lshrrev_b32_e32 v92, 16, v33
	v_lshrrev_b32_e32 v45, 16, v34
	s_wait_dscnt 0x7
	v_lshrrev_b32_e32 v50, 16, v21
	v_lshrrev_b32_e32 v41, 16, v22
	;; [unrolled: 3-line block ×8, first 2 shown]
	s_wait_dscnt 0x0
	v_lshrrev_b32_e32 v86, 16, v57
	v_mov_b32_e32 v16, v25
.LBB0_3:
	s_wait_alu 0xfffe
	s_or_b32 exec_lo, exec_lo, s0
	v_lshlrev_b32_e32 v8, 4, v89
	scratch_store_b32 off, v89, off         ; 4-byte Folded Spill
	v_add_co_u32 v9, s0, 0xfffffce0, v8
	s_wait_alu 0xf1ff
	v_add_co_ci_u32_e64 v10, null, 0, -1, s0
	s_delay_alu instid0(VALU_DEP_2) | instskip(NEXT) | instid1(VALU_DEP_2)
	v_cndmask_b32_e32 v8, v9, v8, vcc_lo
	v_cndmask_b32_e64 v9, v10, 0, vcc_lo
	s_delay_alu instid0(VALU_DEP_1) | instskip(NEXT) | instid1(VALU_DEP_1)
	v_lshlrev_b64_e32 v[8:9], 2, v[8:9]
	v_add_co_u32 v80, s0, s6, v8
	s_wait_alu 0xf1ff
	s_delay_alu instid0(VALU_DEP_2)
	v_add_co_ci_u32_e64 v81, s0, s7, v9, s0
	s_clause 0x1
	global_load_b128 v[8:11], v[80:81], off offset:160
	global_load_b128 v[12:15], v[80:81], off offset:176
	s_wait_loadcnt 0x1
	v_lshrrev_b32_e32 v79, 16, v9
	v_lshrrev_b32_e32 v75, 16, v11
	s_wait_loadcnt 0x0
	v_lshrrev_b32_e32 v72, 16, v13
	v_lshrrev_b32_e32 v73, 16, v14
	;; [unrolled: 1-line block ×3, first 2 shown]
	v_mul_f16_e32 v23, v50, v79
	v_mul_f16_e32 v100, v21, v79
	;; [unrolled: 1-line block ×3, first 2 shown]
	v_lshrrev_b32_e32 v74, 16, v12
	v_mul_f16_e32 v102, v18, v73
	v_fma_f16 v99, v21, v9, -v23
	v_mul_f16_e32 v21, v47, v75
	v_mul_f16_e32 v23, v41, v77
	;; [unrolled: 1-line block ×5, first 2 shown]
	v_fma_f16 v95, v19, v11, -v21
	v_mul_f16_e32 v19, v54, v72
	v_mul_f16_e32 v21, v56, v74
	v_fma_f16 v96, v22, v10, -v23
	v_fmac_f16_e32 v100, v50, v9
	v_fmac_f16_e32 v97, v41, v10
	v_fma_f16 v105, v17, v13, -v19
	v_mul_f16_e32 v19, v55, v73
	v_fma_f16 v93, v20, v12, -v21
	v_fmac_f16_e32 v98, v47, v11
	v_fmac_f16_e32 v94, v56, v12
	;; [unrolled: 1-line block ×3, first 2 shown]
	v_fma_f16 v101, v18, v14, -v19
	v_lshrrev_b32_e32 v18, 16, v15
	v_fmac_f16_e32 v102, v55, v14
	s_delay_alu instid0(VALU_DEP_2) | instskip(SKIP_1) | instid1(VALU_DEP_2)
	v_mul_f16_e32 v17, v43, v18
	v_mul_f16_e32 v104, v16, v18
	v_fma_f16 v103, v16, v15, -v17
	s_clause 0x1
	global_load_b128 v[16:19], v[80:81], off offset:192
	global_load_b128 v[20:23], v[80:81], off offset:208
	v_fmac_f16_e32 v104, v43, v15
	s_wait_loadcnt 0x1
	v_lshrrev_b32_e32 v71, 16, v16
	v_lshrrev_b32_e32 v76, 16, v17
	;; [unrolled: 1-line block ×4, first 2 shown]
	s_wait_loadcnt 0x0
	v_lshrrev_b32_e32 v81, 16, v20
	v_mul_f16_e32 v25, v49, v71
	v_mul_f16_e32 v121, v26, v71
	;; [unrolled: 1-line block ×5, first 2 shown]
	v_fma_f16 v120, v26, v16, -v25
	v_mul_f16_e32 v25, v58, v76
	v_mul_f16_e32 v115, v28, v78
	v_fmac_f16_e32 v116, v82, v19
	v_fmac_f16_e32 v111, v84, v20
	;; [unrolled: 1-line block ×3, first 2 shown]
	v_fma_f16 v119, v27, v17, -v25
	v_mul_f16_e32 v25, v70, v78
	v_sub_f16_e64 v157, v94, v116
	v_sub_f16_e64 v154, v98, v111
	v_fmac_f16_e32 v115, v70, v18
	v_sub_f16_e64 v183, v102, v122
	v_fma_f16 v113, v28, v18, -v25
	v_mul_f16_e32 v25, v82, v80
	v_lshrrev_b32_e32 v82, 16, v23
	v_mul_f16_e64 v132, 0xb1e1, v154
	v_mul_f16_e64 v136, 0x3bb2, v154
	;; [unrolled: 1-line block ×3, first 2 shown]
	v_fma_f16 v112, v35, v19, -v25
	v_mul_f16_e32 v25, v84, v81
	v_lshrrev_b32_e32 v35, 16, v21
	v_mul_f16_e32 v118, v57, v82
	v_mul_f16_e64 v137, 0x3964, v157
	v_add_f16_e32 v126, v93, v112
	v_fma_f16 v110, v36, v20, -v25
	v_mul_f16_e32 v25, v83, v35
	v_lshrrev_b32_e32 v36, 16, v22
	v_mul_f16_e32 v114, v29, v35
	v_fmac_f16_e32 v118, v86, v23
	v_add_f16_e32 v125, v95, v110
	v_fma_f16 v108, v29, v21, -v25
	v_mul_f16_e32 v25, v85, v36
	v_fmac_f16_e32 v114, v83, v21
	v_lshrrev_b32_e32 v83, 16, v8
	v_mul_f16_e32 v109, v30, v36
	v_add_f16_e32 v124, v96, v108
	v_fma_f16 v107, v30, v22, -v25
	v_mul_f16_e32 v25, v86, v82
	v_mul_f16_e32 v123, v34, v83
	v_fmac_f16_e32 v109, v85, v22
	v_sub_f16_e64 v152, v97, v114
	v_sub_f16_e64 v169, v106, v115
	v_fma_f16 v117, v57, v23, -v25
	v_fmac_f16_e32 v123, v45, v8
	v_mul_f16_e32 v25, v45, v83
	v_sub_f16_e64 v149, v100, v109
	v_mul_f16_e64 v130, 0xba62, v152
	v_mul_f16_e64 v135, 0x31e1, v152
	v_sub_f16_e64 v146, v123, v118
	v_fma_f16 v139, v34, v8, -v25
	v_add_f16_e32 v34, v99, v107
	v_mul_f16_e64 v129, 0xbbf7, v149
	v_mul_f16_e64 v134, 0xba62, v149
	;; [unrolled: 1-line block ×3, first 2 shown]
	v_add_f16_e64 v140, v139, v117
	v_mul_f16_e64 v226, 0xbb29, v146
	v_fma_f16 v26, 0x2de8, v34, v129
	v_fma_f16 v27, 0xb8d2, v34, v134
	v_add_f16_e32 v127, v105, v113
	v_fma_f16 v25, 0x39e9, v140, v207
	v_mul_f16_e64 v138, 0x3bb2, v169
	v_mul_f16_e64 v141, 0xb5c8, v169
	v_fmac_f16_e32 v121, v49, v16
	v_add_f16_e64 v128, v101, v119
	v_add_f16_e32 v25, v33, v25
	v_mul_f16_e64 v142, 0x3b29, v183
	v_mul_f16_e64 v143, 0xbbf7, v183
	v_sub_f16_e64 v182, v104, v121
	v_add_f16_e64 v131, v103, v120
	v_add_f16_e32 v25, v26, v25
	v_fma_f16 v26, 0x3722, v140, v226
	v_mul_f16_e64 v57, 0xbbf7, v146
	v_mul_f16_e64 v144, 0x35c8, v182
	;; [unrolled: 1-line block ×4, first 2 shown]
	v_add_f16_e32 v26, v33, v26
	v_mul_f16_e64 v58, 0xbbb2, v146
	v_mul_f16_e64 v179, 0x3836, v149
	;; [unrolled: 1-line block ×3, first 2 shown]
	v_fma_f16 v28, 0xbbdd, v34, v163
	v_add_f16_e32 v26, v27, v26
	v_fma_f16 v27, 0xb8d2, v124, v130
	v_fma_f16 v29, 0xbacd, v34, v179
	v_mul_f16_e64 v177, 0x3964, v152
	v_mul_f16_e64 v162, 0x35c8, v154
	v_mul_f16_e64 v175, 0xbb29, v154
	v_add_f16_e32 v25, v27, v25
	v_fma_f16 v27, 0xbbdd, v124, v135
	v_mul_f16_e64 v161, 0xbb29, v157
	v_mul_f16_e64 v174, 0xb1e1, v157
	v_mul_f16_e64 v160, 0xb836, v169
	v_mul_f16_e64 v173, 0x3bf7, v169
	v_add_f16_e32 v26, v27, v26
	v_fma_f16 v27, 0xbbdd, v125, v132
	v_mul_f16_e64 v158, 0x3a62, v183
	;; [unrolled: 6-line block ×3, first 2 shown]
	v_mul_f16_e64 v203, 0x3bb2, v149
	v_mul_f16_e64 v70, 0xb836, v146
	;; [unrolled: 1-line block ×3, first 2 shown]
	v_add_f16_e32 v26, v27, v26
	v_fma_f16 v27, 0xbacd, v126, v133
	v_fma_f16 v30, 0xb461, v34, v203
	v_mul_f16_e64 v205, 0xb5c8, v152
	v_fma_f16 v41, 0x3722, v34, v220
	v_mul_f16_e64 v218, 0xbbf7, v152
	v_add_f16_e32 v25, v27, v25
	v_fma_f16 v27, 0x39e9, v126, v137
	v_mul_f16_e64 v201, 0xb836, v154
	v_mul_f16_e64 v215, 0x3a62, v154
	v_mul_f16_e64 v202, 0x3bf7, v157
	v_mul_f16_e64 v219, 0xb5c8, v157
	v_add_f16_e32 v26, v27, v26
	v_fma_f16 v27, 0xb461, v127, v138
	v_mul_f16_e64 v200, 0xb964, v169
	v_mul_f16_e64 v216, 0xb1e1, v169
	v_mul_f16_e64 v198, 0xb1e1, v183
	;; [unrolled: 6-line block ×3, first 2 shown]
	v_mul_f16_e64 v151, 0xb964, v149
	v_add_f16_e32 v26, v27, v26
	v_fma_f16 v27, 0x3722, v128, v142
	v_sub_f16_e64 v240, v139, v117
	v_add_f16_e64 v148, v123, v118
	v_fma_f16 v43, 0x39e9, v34, v151
	v_sub_f16_e64 v242, v99, v107
	v_add_f16_e32 v25, v27, v25
	v_fma_f16 v27, 0x2de8, v128, v143
	v_mul_f16_e64 v159, 0xb5c8, v240
	v_add_f16_e64 v147, v100, v109
	v_mul_f16_e64 v156, 0xb964, v242
	v_mul_f16_e64 v184, 0xb964, v240
	v_add_f16_e32 v27, v27, v26
	v_fma_f16 v26, 0x3b76, v131, v144
	v_mul_f16_e64 v181, 0xbbf7, v242
	v_fma_f16 v45, v147, 0x39e9, -v156
	v_mul_f16_e64 v197, 0xbb29, v240
	v_mul_f16_e64 v195, 0xba62, v242
	v_add_f16_e32 v26, v26, v25
	v_fma_f16 v25, 0xbacd, v131, v145
	v_fma_f16 v50, v147, 0x2de8, -v181
	v_mul_f16_e64 v210, 0xbbf7, v240
	v_fma_f16 v54, v147, 0xb8d2, -v195
	v_mul_f16_e64 v209, 0xb1e1, v242
	v_add_f16_e32 v25, v25, v27
	v_fma_f16 v27, 0x2de8, v140, v57
	v_mul_f16_e64 v225, 0xbbb2, v240
	v_mul_f16_e64 v224, 0x3836, v242
	v_fma_f16 v55, v147, 0xbbdd, -v209
	v_mul_f16_e64 v236, 0xba62, v240
	v_add_f16_e32 v27, v33, v27
	v_mul_f16_e64 v235, 0x3bb2, v242
	v_fma_f16 v56, v147, 0xbacd, -v224
	v_mul_f16_e64 v245, 0xb836, v240
	v_mul_f16_e64 v244, 0x3b29, v242
	v_add_f16_e32 v27, v28, v27
	v_fma_f16 v28, 0xb461, v140, v58
	v_fma_f16 v84, v147, 0xb461, -v235
	v_mul_f16_e64 v166, 0xbb29, v152
	v_fma_f16 v85, v147, 0x3722, -v244
	v_sub_f16_e64 v249, v96, v108
	v_add_f16_e32 v28, v33, v28
	v_add_f16_e64 v150, v97, v114
	v_mul_f16_e64 v171, 0xbbf7, v154
	v_sub_f16_e64 v254, v95, v110
	v_mul_f16_e64 v170, 0xbb29, v249
	v_add_f16_e32 v28, v29, v28
	v_fma_f16 v29, 0xb461, v124, v164
	v_mul_f16_e64 v190, 0xba62, v249
	v_mul_f16_e64 v206, 0x31e1, v249
	;; [unrolled: 1-line block ×4, first 2 shown]
	v_add_f16_e32 v27, v29, v27
	v_fma_f16 v29, 0x39e9, v124, v177
	v_mul_f16_e64 v238, 0xb5c8, v249
	v_mul_f16_e64 v248, 0xbbf7, v249
	v_add_f16_e64 v153, v98, v111
	v_mul_f16_e64 v180, 0xbbf7, v254
	v_add_f16_e32 v28, v29, v28
	v_fma_f16 v29, 0x3b76, v125, v162
	v_mul_f16_e64 v193, 0xb1e1, v254
	v_mul_f16_e64 v211, 0x3bb2, v254
	;; [unrolled: 1-line block ×4, first 2 shown]
	v_add_f16_e32 v27, v29, v27
	v_fma_f16 v29, 0x3722, v125, v175
	v_mul_f16_e64 v241, 0xb836, v254
	v_mul_f16_e64 v251, 0x3a62, v254
	;; [unrolled: 1-line block ×3, first 2 shown]
	v_add_f16_e64 v165, v94, v116
	v_add_f16_e32 v28, v29, v28
	v_fma_f16 v29, 0x3722, v126, v161
	v_mul_f16_e64 v187, 0xba62, v169
	v_add_f16_e64 v168, v106, v115
	v_mul_f16_e64 v188, 0xb836, v183
	v_add_f16_e64 v176, v102, v122
	v_add_f16_e32 v27, v29, v27
	v_fma_f16 v29, 0xbbdd, v126, v174
	v_mul_f16_e64 v191, 0xb1e1, v182
	v_add_f16_e64 v185, v104, v121
	s_delay_alu instid0(VALU_DEP_3) | instskip(SKIP_1) | instid1(VALU_DEP_1)
	v_add_f16_e32 v28, v29, v28
	v_fma_f16 v29, 0xbacd, v127, v160
	v_add_f16_e32 v27, v29, v27
	v_fma_f16 v29, 0x2de8, v127, v173
	s_delay_alu instid0(VALU_DEP_1) | instskip(SKIP_1) | instid1(VALU_DEP_1)
	v_add_f16_e32 v28, v29, v28
	v_fma_f16 v29, 0xb8d2, v128, v158
	v_add_f16_e32 v27, v29, v27
	v_fma_f16 v29, 0x3b76, v128, v172
	s_delay_alu instid0(VALU_DEP_1) | instskip(SKIP_1) | instid1(VALU_DEP_1)
	;; [unrolled: 5-line block ×3, first 2 shown]
	v_add_f16_e32 v27, v27, v29
	v_fma_f16 v29, 0xb8d2, v140, v49
	v_add_f16_e32 v29, v33, v29
	s_delay_alu instid0(VALU_DEP_1) | instskip(SKIP_1) | instid1(VALU_DEP_1)
	v_add_f16_e32 v29, v30, v29
	v_fma_f16 v30, 0xbacd, v140, v70
	v_add_f16_e32 v30, v33, v30
	s_delay_alu instid0(VALU_DEP_1) | instskip(SKIP_1) | instid1(VALU_DEP_1)
	v_add_f16_e32 v30, v41, v30
	v_fma_f16 v41, 0x3b76, v124, v205
	v_add_f16_e32 v29, v41, v29
	v_fma_f16 v41, 0x2de8, v124, v218
	s_delay_alu instid0(VALU_DEP_1) | instskip(SKIP_1) | instid1(VALU_DEP_1)
	v_add_f16_e32 v30, v41, v30
	v_fma_f16 v41, 0xbacd, v125, v201
	v_add_f16_e32 v29, v41, v29
	v_fma_f16 v41, 0xb8d2, v125, v215
	;; [unrolled: 5-line block ×6, first 2 shown]
	s_delay_alu instid0(VALU_DEP_1) | instskip(SKIP_1) | instid1(VALU_DEP_1)
	v_add_f16_e32 v29, v29, v41
	v_fma_f16 v41, 0x3b76, v140, v47
	v_add_f16_e32 v41, v33, v41
	s_delay_alu instid0(VALU_DEP_1) | instskip(SKIP_1) | instid1(VALU_DEP_1)
	v_add_f16_e32 v41, v43, v41
	v_fma_f16 v43, v148, 0x3b76, -v159
	v_add_f16_e32 v43, v92, v43
	s_delay_alu instid0(VALU_DEP_1) | instskip(SKIP_1) | instid1(VALU_DEP_1)
	v_add_f16_e32 v43, v45, v43
	v_fma_f16 v45, v148, 0x39e9, -v184
	;; [unrolled: 4-line block ×7, first 2 shown]
	v_add_f16_e32 v84, v92, v84
	s_delay_alu instid0(VALU_DEP_1) | instskip(SKIP_1) | instid1(VALU_DEP_1)
	v_add_f16_e32 v84, v85, v84
	v_fma_f16 v85, 0x3722, v124, v166
	v_add_f16_e32 v41, v85, v41
	v_fma_f16 v85, v150, 0x3722, -v170
	s_delay_alu instid0(VALU_DEP_1) | instskip(SKIP_1) | instid1(VALU_DEP_1)
	v_add_f16_e32 v43, v85, v43
	v_fma_f16 v85, v150, 0xb8d2, -v190
	v_add_f16_e32 v45, v85, v45
	v_fma_f16 v85, v150, 0xbbdd, -v206
	s_delay_alu instid0(VALU_DEP_1) | instskip(SKIP_1) | instid1(VALU_DEP_1)
	v_add_f16_e32 v50, v85, v50
	v_fma_f16 v85, v150, 0xb461, -v214
	;; [unrolled: 5-line block ×3, first 2 shown]
	v_add_f16_e32 v56, v85, v56
	v_fma_f16 v85, v150, 0x2de8, -v248
	s_delay_alu instid0(VALU_DEP_1) | instskip(SKIP_1) | instid1(VALU_DEP_1)
	v_add_f16_e32 v84, v85, v84
	v_fma_f16 v85, 0x2de8, v125, v171
	v_add_f16_e32 v41, v85, v41
	v_fma_f16 v85, v153, 0x2de8, -v180
	s_delay_alu instid0(VALU_DEP_1) | instskip(SKIP_1) | instid1(VALU_DEP_1)
	v_add_f16_e32 v43, v85, v43
	v_fma_f16 v85, v153, 0xbbdd, -v193
	v_add_f16_e32 v45, v85, v45
	v_fma_f16 v85, v153, 0xb461, -v211
	s_delay_alu instid0(VALU_DEP_1) | instskip(SKIP_1) | instid1(VALU_DEP_1)
	v_add_f16_e32 v50, v85, v50
	v_fma_f16 v85, v153, 0x3b76, -v223
	;; [unrolled: 5-line block ×3, first 2 shown]
	v_add_f16_e32 v56, v85, v56
	v_fma_f16 v85, v153, 0xb8d2, -v251
	s_delay_alu instid0(VALU_DEP_1) | instskip(SKIP_1) | instid1(VALU_DEP_1)
	v_add_f16_e32 v84, v85, v84
	v_fma_f16 v85, 0xb461, v126, v178
	v_add_f16_e32 v85, v85, v41
	v_sub_f16_e32 v41, v93, v112
	s_delay_alu instid0(VALU_DEP_1)
	v_mul_f16_e64 v186, 0xbbb2, v41
	v_mul_f16_e64 v196, 0x3836, v41
	;; [unrolled: 1-line block ×5, first 2 shown]
	v_fma_f16 v86, v165, 0xb461, -v186
	v_mul_f16_e64 v246, 0x3bf7, v41
	v_mul_f16_e64 v255, 0xb5c8, v41
	s_delay_alu instid0(VALU_DEP_3) | instskip(SKIP_1) | instid1(VALU_DEP_1)
	v_add_f16_e32 v43, v86, v43
	v_fma_f16 v86, v165, 0xbacd, -v196
	v_add_f16_e32 v86, v86, v45
	v_fma_f16 v45, v165, 0x39e9, -v213
	s_delay_alu instid0(VALU_DEP_1) | instskip(SKIP_1) | instid1(VALU_DEP_1)
	v_add_f16_e32 v50, v45, v50
	v_fma_f16 v45, v165, 0x3722, -v227
	v_add_f16_e32 v54, v45, v54
	v_fma_f16 v45, v165, 0xbbdd, -v237
	s_delay_alu instid0(VALU_DEP_1) | instskip(SKIP_1) | instid1(VALU_DEP_1)
	;; [unrolled: 5-line block ×3, first 2 shown]
	v_add_f16_e32 v84, v45, v84
	v_fma_f16 v45, 0xb8d2, v127, v187
	v_add_f16_e32 v85, v45, v85
	v_sub_f16_e32 v45, v105, v113
	s_delay_alu instid0(VALU_DEP_1)
	v_mul_f16_e64 v189, 0xba62, v45
	v_mul_f16_e64 v204, 0x3bb2, v45
	;; [unrolled: 1-line block ×5, first 2 shown]
	v_fma_f16 v87, v168, 0xb8d2, -v189
	v_mul_f16_e64 v250, 0xb964, v45
	s_delay_alu instid0(VALU_DEP_2) | instskip(SKIP_1) | instid1(VALU_DEP_1)
	v_add_f16_e32 v87, v87, v43
	v_fma_f16 v43, v168, 0xb461, -v204
	v_add_f16_e32 v86, v43, v86
	v_fma_f16 v43, v168, 0x3b76, -v222
	s_delay_alu instid0(VALU_DEP_1) | instskip(SKIP_1) | instid1(VALU_DEP_1)
	v_add_f16_e32 v50, v43, v50
	v_fma_f16 v43, v168, 0xbacd, -v229
	v_add_f16_e32 v88, v43, v54
	v_fma_f16 v43, v168, 0x2de8, -v239
	s_delay_alu instid0(VALU_DEP_1) | instskip(SKIP_1) | instid1(VALU_DEP_1)
	v_add_f16_e32 v55, v43, v55
	v_fma_f16 v43, v168, 0x39e9, -v250
	v_add_f16_e32 v56, v43, v56
	v_mul_f16_e32 v43, 0xb1e1, v45
	s_delay_alu instid0(VALU_DEP_1) | instskip(NEXT) | instid1(VALU_DEP_1)
	v_fma_f16 v54, v168, 0xbbdd, -v43
	v_add_f16_e32 v84, v54, v84
	v_fma_f16 v54, 0xbacd, v128, v188
	s_delay_alu instid0(VALU_DEP_1) | instskip(SKIP_1) | instid1(VALU_DEP_1)
	v_add_f16_e32 v85, v54, v85
	v_sub_f16_e32 v54, v101, v119
	v_mul_f16_e64 v192, 0xb836, v54
	v_mul_f16_e64 v208, 0x3b29, v54
	;; [unrolled: 1-line block ×5, first 2 shown]
	v_fma_f16 v89, v176, 0xbacd, -v192
	v_mul_f16_e64 v252, 0xb1e1, v54
	s_delay_alu instid0(VALU_DEP_2) | instskip(SKIP_1) | instid1(VALU_DEP_1)
	v_add_f16_e32 v87, v89, v87
	v_fma_f16 v89, v176, 0x3722, -v208
	v_add_f16_e32 v86, v89, v86
	v_fma_f16 v89, v176, 0x2de8, -v228
	s_delay_alu instid0(VALU_DEP_1) | instskip(SKIP_1) | instid1(VALU_DEP_1)
	v_add_f16_e64 v234, v89, v50
	v_fma_f16 v50, v176, 0xb8d2, -v232
	v_add_f16_e64 v247, v50, v88
	v_fma_f16 v50, v176, 0x3b76, -v243
	s_delay_alu instid0(VALU_DEP_1) | instskip(SKIP_1) | instid1(VALU_DEP_1)
	v_add_f16_e64 v253, v50, v55
	v_fma_f16 v50, v176, 0xbbdd, -v252
	v_add_f16_e32 v56, v50, v56
	v_mul_f16_e32 v50, 0x3964, v54
	s_delay_alu instid0(VALU_DEP_1) | instskip(NEXT) | instid1(VALU_DEP_1)
	v_fma_f16 v55, v176, 0x39e9, -v50
	v_add_f16_e32 v84, v55, v84
	v_fma_f16 v55, 0xbbdd, v131, v191
	s_delay_alu instid0(VALU_DEP_1) | instskip(SKIP_1) | instid1(VALU_DEP_1)
	v_add_f16_e32 v89, v55, v85
	v_sub_f16_e32 v55, v103, v120
	v_mul_f16_e64 v194, 0xb1e1, v55
	v_mul_f16_e64 v212, 0x35c8, v55
	;; [unrolled: 1-line block ×3, first 2 shown]
	s_delay_alu instid0(VALU_DEP_3) | instskip(NEXT) | instid1(VALU_DEP_1)
	v_fma_f16 v85, v185, 0xbbdd, -v194
	v_add_f16_e32 v91, v85, v87
	s_delay_alu instid0(VALU_DEP_4) | instskip(NEXT) | instid1(VALU_DEP_1)
	v_fma_f16 v85, v185, 0x3b76, -v212
	v_add_f16_e32 v90, v85, v86
	v_fma_f16 v85, v185, 0xbacd, -v231
	s_delay_alu instid0(VALU_DEP_1) | instskip(SKIP_1) | instid1(VALU_DEP_1)
	v_add_f16_e64 v88, v85, v234
	v_mul_f16_e64 v234, 0x3964, v55
	v_fma_f16 v85, v185, 0x39e9, -v234
	s_delay_alu instid0(VALU_DEP_1) | instskip(SKIP_1) | instid1(VALU_DEP_1)
	v_add_f16_e64 v87, v85, v247
	v_mul_f16_e64 v247, 0xba62, v55
	v_fma_f16 v85, v185, 0xb8d2, -v247
	s_delay_alu instid0(VALU_DEP_1) | instskip(SKIP_1) | instid1(VALU_DEP_1)
	v_add_f16_e64 v86, v85, v253
	v_mul_f16_e64 v253, 0x3b29, v55
	v_fma_f16 v85, v185, 0x3722, -v253
	s_delay_alu instid0(VALU_DEP_1) | instskip(SKIP_1) | instid1(VALU_DEP_1)
	v_add_f16_e32 v85, v85, v56
	v_mul_f16_e32 v56, 0xbbb2, v55
	v_fma_f16 v71, v185, 0xb461, -v56
	s_delay_alu instid0(VALU_DEP_1)
	v_add_f16_e32 v84, v71, v84
	s_and_saveexec_b32 s0, vcc_lo
	s_cbranch_execz .LBB0_5
; %bb.4:
	v_mul_f16_e64 v71, 0xbacd, v140
	v_mul_f16_e64 v146, 0xb1e1, v146
	v_add_f16_e64 v139, v33, v139
	v_mul_f16_e32 v41, 0xba62, v41
	v_mul_f16_e32 v45, 0x3b29, v45
	v_sub_f16_e32 v70, v71, v70
	v_mul_f16_e64 v71, 0xb8d2, v140
	v_mul_f16_e64 v149, 0x35c8, v149
	v_add_f16_e32 v123, v92, v123
	v_add_f16_e64 v99, v139, v99
	v_add_f16_e32 v70, v33, v70
	v_sub_f16_e32 v49, v71, v49
	v_mul_f16_e64 v71, 0xb461, v140
	v_add_f16_e32 v100, v123, v100
	v_mul_f16_e32 v123, 0x3722, v124
	v_add_f16_e32 v96, v99, v96
	v_add_f16_e32 v49, v33, v49
	v_sub_f16_e32 v58, v71, v58
	v_mul_f16_e64 v71, 0x2de8, v140
	v_add_f16_e32 v97, v100, v97
	v_sub_f16_e64 v123, v123, v166
	v_mul_f16_e32 v100, 0x2de8, v125
	v_add_f16_e32 v58, v33, v58
	v_sub_f16_e32 v57, v71, v57
	v_mul_f16_e64 v71, 0x3722, v140
	v_add_f16_e32 v95, v96, v95
	v_add_f16_e32 v96, v97, v98
	v_sub_f16_e64 v100, v100, v171
	v_add_f16_e32 v57, v33, v57
	v_sub_f16_e64 v71, v71, v226
	v_mul_f16_e64 v226, 0x39e9, v140
	v_add_f16_e32 v93, v95, v93
	v_add_f16_e32 v94, v96, v94
	v_mul_f16_e32 v95, 0xb461, v126
	v_add_f16_e32 v71, v33, v71
	v_sub_f16_e64 v207, v226, v207
	v_mul_f16_e64 v226, 0x3b76, v140
	v_add_f16_e32 v93, v93, v105
	v_sub_f16_e64 v95, v95, v178
	v_add_f16_e32 v94, v94, v106
	v_add_f16_e64 v207, v33, v207
	v_sub_f16_e64 v47, v226, v47
	v_fma_f16 v226, v140, 0xbbdd, -v146
	v_fmac_f16_e64 v146, 0xbbdd, v140
	v_mul_f16_e64 v99, 0xb461, v165
	v_add_f16_e32 v93, v93, v101
	v_add_f16_e32 v47, v33, v47
	v_add_f16_e64 v140, v33, v226
	v_add_f16_e64 v33, v33, v146
	v_mul_f16_e64 v146, 0xb1e1, v240
	v_mul_f16_e64 v226, 0x35c8, v242
	v_add_f16_e32 v94, v94, v102
	v_add_f16_e64 v99, v186, v99
	v_mul_f16_e64 v98, 0xb8d2, v168
	v_fma_f16 v240, 0xbbdd, v148, v146
	v_fma_f16 v242, 0x3b76, v147, v226
	v_add_f16_e32 v93, v93, v103
	v_add_f16_e32 v94, v94, v104
	v_add_f16_e64 v98, v189, v98
	v_add_f16_e64 v240, v92, v240
	v_mul_f16_e64 v152, 0xb836, v152
	v_add_f16_e32 v93, v93, v120
	v_add_f16_e32 v94, v94, v121
	v_mul_f16_e32 v54, 0xbbb2, v54
	v_add_f16_e64 v240, v242, v240
	v_mul_f16_e64 v242, 0xb836, v249
	v_add_f16_e32 v93, v93, v119
	v_add_f16_e32 v94, v94, v122
	v_mul_f16_e64 v154, 0x3964, v154
	v_mul_f16_e64 v157, 0xba62, v157
	v_fma_f16 v249, 0xbacd, v150, v242
	v_mul_f16_e64 v169, 0x3b29, v169
	v_mul_f16_e64 v183, 0xbbb2, v183
	v_mul_f16_e32 v55, 0x3bf7, v55
	v_mul_f16_e64 v182, 0x3bf7, v182
	v_add_f16_e64 v240, v249, v240
	v_mul_f16_e64 v249, 0x3964, v254
	s_delay_alu instid0(VALU_DEP_1) | instskip(NEXT) | instid1(VALU_DEP_1)
	v_fma_f16 v254, 0x39e9, v153, v249
	v_add_f16_e64 v240, v254, v240
	v_fma_f16 v254, 0xb8d2, v165, v41
	v_fma_f16 v41, v165, 0xb8d2, -v41
	s_delay_alu instid0(VALU_DEP_2) | instskip(SKIP_2) | instid1(VALU_DEP_2)
	v_add_f16_e64 v240, v254, v240
	v_fma_f16 v254, 0x3722, v168, v45
	v_fma_f16 v45, v168, 0x3722, -v45
	v_add_f16_e64 v240, v254, v240
	v_mul_f16_e64 v254, 0xbacd, v148
	s_delay_alu instid0(VALU_DEP_1) | instskip(SKIP_2) | instid1(VALU_DEP_3)
	v_add_f16_e64 v245, v245, v254
	v_fma_f16 v254, v34, 0x3b76, -v149
	v_fmac_f16_e64 v149, 0x3b76, v34
	v_add_f16_e64 v245, v92, v245
	s_delay_alu instid0(VALU_DEP_3) | instskip(SKIP_1) | instid1(VALU_DEP_4)
	v_add_f16_e64 v140, v254, v140
	v_mul_f16_e64 v254, 0x3722, v147
	v_add_f16_e64 v33, v149, v33
	s_delay_alu instid0(VALU_DEP_2) | instskip(SKIP_2) | instid1(VALU_DEP_3)
	v_add_f16_e64 v244, v244, v254
	v_fma_f16 v254, v124, 0xbacd, -v152
	v_fmac_f16_e64 v152, 0xbacd, v124
	v_add_f16_e64 v244, v244, v245
	v_mul_f16_e64 v245, 0x2de8, v150
	s_delay_alu instid0(VALU_DEP_4) | instskip(NEXT) | instid1(VALU_DEP_4)
	v_add_f16_e64 v140, v254, v140
	v_add_f16_e64 v33, v152, v33
	s_delay_alu instid0(VALU_DEP_3) | instskip(SKIP_1) | instid1(VALU_DEP_2)
	v_add_f16_e64 v245, v248, v245
	v_fma_f16 v248, 0xb461, v176, v54
	v_add_f16_e64 v244, v245, v244
	v_mul_f16_e64 v245, 0xb8d2, v153
	s_delay_alu instid0(VALU_DEP_3) | instskip(SKIP_2) | instid1(VALU_DEP_4)
	v_add_f16_e64 v240, v248, v240
	v_fma_f16 v248, v125, 0x39e9, -v154
	v_fmac_f16_e64 v154, 0x39e9, v125
	v_add_f16_e64 v245, v251, v245
	s_delay_alu instid0(VALU_DEP_3) | instskip(SKIP_1) | instid1(VALU_DEP_4)
	v_add_f16_e64 v140, v248, v140
	v_fma_f16 v248, v126, 0xb8d2, -v157
	v_add_f16_e64 v33, v154, v33
	s_delay_alu instid0(VALU_DEP_4)
	v_add_f16_e64 v244, v245, v244
	v_mul_f16_e64 v245, 0x3b76, v165
	v_fmac_f16_e64 v157, 0xb8d2, v126
	v_add_f16_e64 v140, v248, v140
	v_fma_f16 v248, v127, 0x3722, -v169
	v_fmac_f16_e64 v169, 0x3722, v127
	v_add_f16_e64 v245, v255, v245
	v_add_f16_e64 v33, v157, v33
	s_delay_alu instid0(VALU_DEP_4) | instskip(NEXT) | instid1(VALU_DEP_3)
	v_add_f16_e64 v140, v248, v140
	v_add_f16_e64 v244, v245, v244
	v_mul_f16_e64 v245, 0xbbdd, v168
	s_delay_alu instid0(VALU_DEP_4) | instskip(NEXT) | instid1(VALU_DEP_2)
	v_add_f16_e64 v33, v169, v33
	v_add_f16_e64 v43, v43, v245
	v_fma_f16 v245, 0x2de8, v185, v55
	s_delay_alu instid0(VALU_DEP_2) | instskip(SKIP_1) | instid1(VALU_DEP_3)
	v_add_f16_e64 v43, v43, v244
	v_mul_f16_e64 v244, 0x39e9, v176
	v_add_f16_e64 v240, v245, v240
	s_delay_alu instid0(VALU_DEP_2) | instskip(SKIP_1) | instid1(VALU_DEP_2)
	v_add_f16_e64 v50, v50, v244
	v_mul_f16_e64 v244, 0x3722, v34
	v_add_f16_e32 v43, v50, v43
	s_delay_alu instid0(VALU_DEP_2) | instskip(SKIP_2) | instid1(VALU_DEP_3)
	v_sub_f16_e64 v220, v244, v220
	v_fma_f16 v244, v128, 0xb461, -v183
	v_fmac_f16_e64 v183, 0xb461, v128
	v_add_f16_e64 v50, v220, v70
	v_mul_f16_e32 v70, 0x2de8, v124
	s_delay_alu instid0(VALU_DEP_4) | instskip(NEXT) | instid1(VALU_DEP_4)
	v_add_f16_e64 v140, v244, v140
	v_add_f16_e64 v33, v183, v33
	s_delay_alu instid0(VALU_DEP_3) | instskip(SKIP_1) | instid1(VALU_DEP_2)
	v_sub_f16_e64 v70, v70, v218
	v_mul_f16_e64 v218, 0xb461, v185
	v_add_f16_e32 v50, v70, v50
	s_delay_alu instid0(VALU_DEP_2) | instskip(SKIP_2) | instid1(VALU_DEP_3)
	v_add_f16_e64 v56, v56, v218
	v_mul_f16_e64 v218, 0xb8d2, v125
	v_mul_f16_e64 v70, 0xb8d2, v148
	v_add_f16_e32 v43, v56, v43
	s_delay_alu instid0(VALU_DEP_3) | instskip(NEXT) | instid1(VALU_DEP_3)
	v_sub_f16_e64 v215, v218, v215
	v_add_f16_e64 v70, v236, v70
	v_mul_f16_e64 v218, 0xb461, v147
	s_delay_alu instid0(VALU_DEP_3) | instskip(SKIP_1) | instid1(VALU_DEP_3)
	v_add_f16_e64 v50, v215, v50
	v_mul_f16_e64 v215, 0x3b76, v126
	v_add_f16_e64 v218, v235, v218
	v_add_f16_e32 v70, v92, v70
	s_delay_alu instid0(VALU_DEP_3) | instskip(NEXT) | instid1(VALU_DEP_2)
	v_sub_f16_e64 v215, v215, v219
	v_add_f16_e64 v70, v218, v70
	v_mul_f16_e64 v218, 0x3b76, v150
	s_delay_alu instid0(VALU_DEP_3) | instskip(SKIP_1) | instid1(VALU_DEP_3)
	v_add_f16_e64 v50, v215, v50
	v_mul_f16_e64 v215, 0xbbdd, v127
	v_add_f16_e64 v218, v238, v218
	s_delay_alu instid0(VALU_DEP_2) | instskip(SKIP_1) | instid1(VALU_DEP_3)
	v_sub_f16_e64 v215, v215, v216
	v_mul_f16_e64 v216, 0xbacd, v153
	v_add_f16_e64 v70, v218, v70
	s_delay_alu instid0(VALU_DEP_3) | instskip(NEXT) | instid1(VALU_DEP_3)
	v_add_f16_e64 v50, v215, v50
	v_add_f16_e64 v216, v241, v216
	v_mul_f16_e64 v215, 0x39e9, v128
	s_delay_alu instid0(VALU_DEP_2) | instskip(NEXT) | instid1(VALU_DEP_2)
	v_add_f16_e64 v70, v216, v70
	v_sub_f16_e64 v215, v215, v217
	v_mul_f16_e64 v216, 0x2de8, v165
	v_mul_f16_e64 v217, 0xb461, v34
	s_delay_alu instid0(VALU_DEP_3) | instskip(NEXT) | instid1(VALU_DEP_3)
	v_add_f16_e64 v50, v215, v50
	v_add_f16_e64 v216, v246, v216
	s_delay_alu instid0(VALU_DEP_3) | instskip(SKIP_1) | instid1(VALU_DEP_3)
	v_sub_f16_e64 v203, v217, v203
	v_mul_f16_e64 v215, 0xb461, v131
	v_add_f16_e64 v70, v216, v70
	v_mul_f16_e64 v216, 0x39e9, v168
	s_delay_alu instid0(VALU_DEP_4) | instskip(SKIP_2) | instid1(VALU_DEP_4)
	v_add_f16_e64 v49, v203, v49
	v_mul_f16_e64 v203, 0x3b76, v124
	v_sub_f16_e64 v215, v215, v221
	v_add_f16_e64 v216, v250, v216
	s_delay_alu instid0(VALU_DEP_3) | instskip(SKIP_2) | instid1(VALU_DEP_4)
	v_sub_f16_e64 v203, v203, v205
	v_fma_f16 v205, v131, 0x2de8, -v182
	v_fmac_f16_e64 v182, 0x2de8, v131
	v_add_f16_e64 v70, v216, v70
	v_mul_f16_e64 v216, 0xbbdd, v176
	v_add_f16_e64 v49, v203, v49
	v_mul_f16_e64 v203, 0xbacd, v125
	v_add_f16_e64 v50, v215, v50
	v_add_f16_e64 v140, v205, v140
	;; [unrolled: 1-line block ×4, first 2 shown]
	v_sub_f16_e64 v201, v203, v201
	v_mul_f16_e64 v203, 0xbacd, v147
	v_pack_b32_f16 v43, v50, v43
	v_add_f16_e64 v56, v216, v70
	v_mul_f16_e64 v70, 0xb461, v148
	v_add_f16_e64 v49, v201, v49
	v_mul_f16_e64 v201, 0x2de8, v126
	v_add_f16_e64 v203, v224, v203
	v_add_nc_u32_e32 v50, 0x400, v38
	v_add_f16_e64 v70, v225, v70
	s_delay_alu instid0(VALU_DEP_4) | instskip(SKIP_1) | instid1(VALU_DEP_3)
	v_sub_f16_e64 v201, v201, v202
	v_mul_f16_e64 v202, 0x39e9, v150
	v_add_f16_e32 v70, v92, v70
	s_delay_alu instid0(VALU_DEP_3) | instskip(SKIP_1) | instid1(VALU_DEP_4)
	v_add_f16_e64 v49, v201, v49
	v_mul_f16_e64 v201, 0x39e9, v127
	v_add_f16_e64 v202, v230, v202
	s_delay_alu instid0(VALU_DEP_4) | instskip(SKIP_1) | instid1(VALU_DEP_4)
	v_add_f16_e64 v70, v203, v70
	v_mul_f16_e64 v203, 0x3722, v185
	v_sub_f16_e64 v200, v201, v200
	v_mul_f16_e64 v201, 0x3722, v153
	s_delay_alu instid0(VALU_DEP_4) | instskip(NEXT) | instid1(VALU_DEP_4)
	v_add_f16_e64 v70, v202, v70
	v_add_f16_e64 v203, v253, v203
	s_delay_alu instid0(VALU_DEP_4) | instskip(NEXT) | instid1(VALU_DEP_4)
	v_add_f16_e64 v49, v200, v49
	v_add_f16_e64 v201, v233, v201
	v_mul_f16_e64 v200, 0xbbdd, v128
	s_delay_alu instid0(VALU_DEP_4) | instskip(NEXT) | instid1(VALU_DEP_3)
	v_add_f16_e64 v56, v203, v56
	v_add_f16_e64 v70, v201, v70
	v_mul_f16_e64 v201, 0xbacd, v34
	s_delay_alu instid0(VALU_DEP_4) | instskip(SKIP_1) | instid1(VALU_DEP_3)
	v_sub_f16_e64 v198, v200, v198
	v_mul_f16_e64 v200, 0xbbdd, v165
	v_sub_f16_e64 v179, v201, v179
	s_delay_alu instid0(VALU_DEP_3) | instskip(SKIP_1) | instid1(VALU_DEP_4)
	v_add_f16_e64 v49, v198, v49
	v_mul_f16_e64 v198, 0x3722, v131
	v_add_f16_e64 v200, v237, v200
	s_delay_alu instid0(VALU_DEP_4) | instskip(SKIP_1) | instid1(VALU_DEP_4)
	v_add_f16_e64 v58, v179, v58
	v_mul_f16_e64 v179, 0x39e9, v124
	v_sub_f16_e64 v198, v198, v199
	v_mul_f16_e64 v199, 0x2de8, v168
	v_add_f16_e64 v70, v200, v70
	s_delay_alu instid0(VALU_DEP_4) | instskip(SKIP_1) | instid1(VALU_DEP_4)
	v_sub_f16_e64 v177, v179, v177
	v_mul_f16_e64 v179, 0x2de8, v148
	v_add_f16_e64 v199, v239, v199
	v_add_f16_e64 v49, v198, v49
	v_mul_f16_e64 v198, 0x3b76, v176
	v_add_f16_e64 v58, v177, v58
	v_mul_f16_e64 v177, 0x3722, v125
	v_add_f16_e64 v179, v210, v179
	v_add_f16_e64 v70, v199, v70
	;; [unrolled: 1-line block ×3, first 2 shown]
	v_pack_b32_f16 v49, v49, v56
	v_sub_f16_e64 v175, v177, v175
	v_mul_f16_e64 v177, 0xbbdd, v147
	v_perm_b32 v56, v90, v26, 0x5040100
	v_add_f16_e64 v70, v198, v70
	v_mul_f16_e64 v198, 0xb8d2, v185
	v_add_f16_e64 v58, v175, v58
	v_mul_f16_e64 v175, 0xbbdd, v126
	v_add_f16_e64 v177, v209, v177
	s_delay_alu instid0(VALU_DEP_4) | instskip(NEXT) | instid1(VALU_DEP_3)
	v_add_f16_e64 v198, v247, v198
	v_sub_f16_e64 v174, v175, v174
	v_add_f16_e64 v175, v92, v179
	s_delay_alu instid0(VALU_DEP_3) | instskip(NEXT) | instid1(VALU_DEP_3)
	v_add_f16_e64 v70, v198, v70
	v_add_f16_e64 v58, v174, v58
	s_delay_alu instid0(VALU_DEP_3) | instskip(SKIP_2) | instid1(VALU_DEP_2)
	v_add_f16_e64 v175, v177, v175
	v_mul_f16_e64 v177, 0xb461, v150
	v_mul_f16_e64 v174, 0x2de8, v127
	v_add_f16_e64 v177, v214, v177
	s_delay_alu instid0(VALU_DEP_2) | instskip(NEXT) | instid1(VALU_DEP_2)
	v_sub_f16_e64 v173, v174, v173
	v_add_f16_e64 v174, v177, v175
	v_mul_f16_e64 v177, 0xbbdd, v34
	v_mul_f16_e64 v175, 0x3b76, v153
	s_delay_alu instid0(VALU_DEP_4) | instskip(SKIP_1) | instid1(VALU_DEP_4)
	v_add_f16_e64 v58, v173, v58
	v_mul_f16_e64 v173, 0x3b76, v128
	v_sub_f16_e64 v163, v177, v163
	s_delay_alu instid0(VALU_DEP_4) | instskip(NEXT) | instid1(VALU_DEP_3)
	v_add_f16_e64 v175, v223, v175
	v_sub_f16_e64 v172, v173, v172
	v_mul_f16_e64 v173, 0x3722, v148
	s_delay_alu instid0(VALU_DEP_4)
	v_add_f16_e64 v57, v163, v57
	v_mul_f16_e64 v163, 0xb461, v124
	v_add_f16_e64 v174, v175, v174
	v_mul_f16_e64 v175, 0xb8d2, v147
	v_add_f16_e64 v173, v197, v173
	v_add_f16_e64 v58, v172, v58
	v_sub_f16_e64 v163, v163, v164
	v_mul_f16_e64 v164, 0x3722, v165
	v_add_f16_e64 v175, v195, v175
	v_mul_f16_e64 v172, 0xbbdd, v150
	s_delay_alu instid0(VALU_DEP_4) | instskip(SKIP_2) | instid1(VALU_DEP_4)
	v_add_f16_e64 v57, v163, v57
	v_mul_f16_e64 v163, 0x3b76, v125
	v_add_f16_e64 v164, v227, v164
	v_add_f16_e64 v172, v206, v172
	s_delay_alu instid0(VALU_DEP_3) | instskip(NEXT) | instid1(VALU_DEP_3)
	v_sub_f16_e64 v162, v163, v162
	v_add_f16_e64 v163, v164, v174
	v_add_f16_e64 v164, v92, v173
	v_mul_f16_e64 v173, 0xbacd, v168
	s_delay_alu instid0(VALU_DEP_4) | instskip(SKIP_1) | instid1(VALU_DEP_4)
	v_add_f16_e64 v57, v162, v57
	v_mul_f16_e64 v162, 0x3722, v126
	v_add_f16_e64 v164, v175, v164
	s_delay_alu instid0(VALU_DEP_4) | instskip(NEXT) | instid1(VALU_DEP_3)
	v_add_f16_e64 v173, v229, v173
	v_sub_f16_e64 v161, v162, v161
	v_mul_f16_e64 v162, 0xb8d2, v131
	s_delay_alu instid0(VALU_DEP_4) | instskip(NEXT) | instid1(VALU_DEP_4)
	v_add_f16_e64 v164, v172, v164
	v_add_f16_e64 v163, v173, v163
	s_delay_alu instid0(VALU_DEP_4) | instskip(SKIP_3) | instid1(VALU_DEP_3)
	v_add_f16_e64 v57, v161, v57
	v_mul_f16_e64 v161, 0xbacd, v127
	v_sub_f16_e64 v162, v162, v167
	v_mul_f16_e64 v167, 0xb461, v153
	v_sub_f16_e64 v160, v161, v160
	v_mul_f16_e64 v161, 0xb8d2, v176
	s_delay_alu instid0(VALU_DEP_3)
	v_add_f16_e64 v167, v211, v167
	v_add_f16_e64 v58, v162, v58
	v_mul_f16_e64 v162, 0x3b76, v168
	v_add_f16_e64 v57, v160, v57
	v_mul_f16_e64 v160, 0xb8d2, v128
	;; [unrolled: 2-line block ×3, first 2 shown]
	v_add_f16_e64 v161, v232, v161
	v_add_f16_e64 v162, v222, v162
	v_sub_f16_e64 v158, v160, v158
	s_delay_alu instid0(VALU_DEP_4) | instskip(NEXT) | instid1(VALU_DEP_4)
	v_add_f16_e64 v167, v213, v167
	v_add_f16_e64 v160, v161, v163
	v_mul_f16_e64 v163, 0x39e9, v185
	s_delay_alu instid0(VALU_DEP_4) | instskip(SKIP_2) | instid1(VALU_DEP_4)
	v_add_f16_e64 v57, v158, v57
	v_mul_f16_e64 v158, 0x39e9, v131
	v_add_f16_e64 v161, v167, v164
	v_add_f16_e64 v163, v234, v163
	s_delay_alu instid0(VALU_DEP_3) | instskip(NEXT) | instid1(VALU_DEP_3)
	v_sub_f16_e64 v155, v158, v155
	v_add_f16_e64 v158, v162, v161
	v_mul_f16_e64 v161, 0x2de8, v176
	v_mul_f16_e64 v162, 0x2de8, v34
	v_add_f16_e64 v160, v163, v160
	v_add_f16_e64 v57, v155, v57
	v_mul_f16_e64 v155, 0xb8d2, v34
	v_add_f16_e64 v161, v228, v161
	v_sub_f16_e64 v129, v162, v129
	s_delay_alu instid0(VALU_DEP_3) | instskip(NEXT) | instid1(VALU_DEP_3)
	v_sub_f16_e64 v134, v155, v134
	v_add_f16_e64 v155, v161, v158
	v_mul_f16_e64 v158, 0x39e9, v148
	s_delay_alu instid0(VALU_DEP_4) | instskip(SKIP_4) | instid1(VALU_DEP_4)
	v_add_f16_e64 v129, v129, v207
	v_mul_f16_e64 v161, 0xbacd, v185
	v_add_f16_e64 v71, v134, v71
	v_mul_f16_e64 v134, 0xbbdd, v124
	v_add_f16_e64 v158, v184, v158
	v_add_f16_e64 v161, v231, v161
	s_delay_alu instid0(VALU_DEP_3) | instskip(SKIP_1) | instid1(VALU_DEP_2)
	v_sub_f16_e64 v134, v134, v135
	v_mul_f16_e64 v135, 0x2de8, v147
	v_add_f16_e64 v71, v134, v71
	v_mul_f16_e64 v134, 0xb461, v125
	s_delay_alu instid0(VALU_DEP_3) | instskip(NEXT) | instid1(VALU_DEP_2)
	v_add_f16_e64 v135, v181, v135
	v_sub_f16_e64 v134, v134, v136
	v_add_f16_e64 v136, v92, v158
	v_mul_f16_e64 v158, 0xb8d2, v124
	s_delay_alu instid0(VALU_DEP_3) | instskip(NEXT) | instid1(VALU_DEP_3)
	v_add_f16_e64 v71, v134, v71
	v_add_f16_e64 v135, v135, v136
	v_mul_f16_e64 v136, 0xb8d2, v150
	s_delay_alu instid0(VALU_DEP_4) | instskip(SKIP_1) | instid1(VALU_DEP_3)
	v_sub_f16_e64 v130, v158, v130
	v_mul_f16_e64 v134, 0x39e9, v126
	v_add_f16_e64 v136, v190, v136
	s_delay_alu instid0(VALU_DEP_3) | instskip(SKIP_1) | instid1(VALU_DEP_4)
	v_add_f16_e64 v129, v130, v129
	v_mul_f16_e64 v130, 0xbbdd, v125
	v_sub_f16_e64 v134, v134, v137
	v_mul_f16_e64 v137, 0x39e9, v147
	v_add_f16_e64 v135, v136, v135
	v_mul_f16_e64 v136, 0xbbdd, v153
	v_sub_f16_e64 v130, v130, v132
	v_add_f16_e64 v71, v134, v71
	v_mul_f16_e64 v132, 0x3b76, v127
	v_add_f16_e64 v137, v156, v137
	v_add_f16_e64 v136, v193, v136
	;; [unrolled: 1-line block ×3, first 2 shown]
	v_mul_f16_e64 v130, 0xbacd, v126
	v_sub_f16_e64 v132, v132, v141
	s_delay_alu instid0(VALU_DEP_4) | instskip(SKIP_1) | instid1(VALU_DEP_4)
	v_add_f16_e64 v134, v136, v135
	v_mul_f16_e64 v135, 0xbacd, v165
	v_sub_f16_e64 v130, v130, v133
	s_delay_alu instid0(VALU_DEP_4)
	v_add_f16_e64 v71, v132, v71
	v_mul_f16_e64 v132, 0x2de8, v128
	v_mul_f16_e64 v136, 0x3b76, v148
	v_add_f16_e64 v135, v196, v135
	v_add_f16_e64 v129, v130, v129
	v_mul_f16_e64 v130, 0xb461, v127
	v_sub_f16_e64 v132, v132, v143
	v_add_f16_e64 v136, v159, v136
	v_add_f16_e64 v133, v135, v134
	v_mul_f16_e64 v134, 0xb461, v168
	v_sub_f16_e64 v130, v130, v138
	v_add_f16_e64 v71, v132, v71
	v_add_f16_e64 v135, v161, v155
	s_delay_alu instid0(VALU_DEP_4) | instskip(NEXT) | instid1(VALU_DEP_4)
	v_add_f16_e64 v134, v204, v134
	v_add_f16_e64 v129, v130, v129
	v_mul_f16_e64 v130, 0x3722, v128
	s_delay_alu instid0(VALU_DEP_3) | instskip(SKIP_2) | instid1(VALU_DEP_4)
	v_add_f16_e64 v132, v134, v133
	v_mul_f16_e64 v133, 0x3722, v176
	v_mul_f16_e64 v134, 0xbacd, v131
	v_sub_f16_e64 v130, v130, v142
	s_delay_alu instid0(VALU_DEP_3) | instskip(NEXT) | instid1(VALU_DEP_3)
	v_add_f16_e64 v133, v208, v133
	v_sub_f16_e64 v134, v134, v145
	s_delay_alu instid0(VALU_DEP_3) | instskip(SKIP_1) | instid1(VALU_DEP_4)
	v_add_f16_e64 v129, v130, v129
	v_mul_f16_e64 v130, 0x3b76, v131
	v_add_f16_e64 v132, v133, v132
	v_mul_f16_e64 v133, 0x3b76, v185
	;; [unrolled: 2-line block ×3, first 2 shown]
	v_sub_f16_e64 v130, v130, v144
	v_add_f16_e32 v34, v93, v113
	v_add_f16_e64 v133, v212, v133
	v_add_f16_e32 v93, v94, v115
	v_sub_f16_e64 v134, v134, v151
	v_add_f16_e64 v129, v130, v129
	v_add_f16_e64 v130, v92, v136
	;; [unrolled: 1-line block ×3, first 2 shown]
	v_mul_f16_e64 v133, 0x3722, v150
	v_add_f16_e64 v47, v134, v47
	v_fma_f16 v94, v153, 0x39e9, -v249
	v_add_f16_e64 v130, v137, v130
	v_add_f16_e32 v34, v34, v112
	v_add_f16_e64 v133, v170, v133
	v_add_f16_e32 v47, v123, v47
	v_add_f16_e32 v93, v93, v116
	s_delay_alu instid0(VALU_DEP_4) | instskip(NEXT) | instid1(VALU_DEP_4)
	v_add_f16_e32 v34, v34, v110
	v_add_f16_e64 v130, v133, v130
	v_mul_f16_e64 v133, 0x2de8, v153
	v_add_f16_e32 v47, v100, v47
	v_add_f16_e32 v93, v93, v111
	;; [unrolled: 1-line block ×3, first 2 shown]
	s_delay_alu instid0(VALU_DEP_4) | instskip(NEXT) | instid1(VALU_DEP_4)
	v_add_f16_e64 v133, v180, v133
	v_add_f16_e32 v47, v95, v47
	v_mul_f16_e32 v95, 0xb8d2, v127
	s_delay_alu instid0(VALU_DEP_4) | instskip(NEXT) | instid1(VALU_DEP_4)
	v_add_f16_e32 v34, v34, v107
	v_add_f16_e64 v130, v133, v130
	s_delay_alu instid0(VALU_DEP_3) | instskip(NEXT) | instid1(VALU_DEP_3)
	v_sub_f16_e64 v95, v95, v187
	v_add_f16_e32 v34, v34, v117
	s_delay_alu instid0(VALU_DEP_3) | instskip(NEXT) | instid1(VALU_DEP_3)
	v_add_f16_e64 v97, v99, v130
	v_add_f16_e32 v47, v95, v47
	v_fma_f16 v95, v148, 0xbbdd, -v146
	s_delay_alu instid0(VALU_DEP_3) | instskip(SKIP_2) | instid1(VALU_DEP_4)
	v_add_f16_e32 v96, v98, v97
	v_mul_f16_e64 v97, 0xbacd, v176
	v_mul_f16_e64 v98, 0xbacd, v128
	v_add_f16_e32 v92, v92, v95
	v_fma_f16 v95, v147, 0x3b76, -v226
	s_delay_alu instid0(VALU_DEP_4) | instskip(NEXT) | instid1(VALU_DEP_4)
	v_add_f16_e64 v97, v192, v97
	v_sub_f16_e64 v98, v98, v188
	s_delay_alu instid0(VALU_DEP_3) | instskip(SKIP_1) | instid1(VALU_DEP_4)
	v_add_f16_e32 v92, v95, v92
	v_fma_f16 v95, v150, 0xbacd, -v242
	v_add_f16_e32 v96, v97, v96
	v_mul_f16_e64 v97, 0xbbdd, v185
	v_add_f16_e32 v47, v98, v47
	s_delay_alu instid0(VALU_DEP_4) | instskip(NEXT) | instid1(VALU_DEP_3)
	v_add_f16_e32 v92, v95, v92
	v_add_f16_e64 v97, v194, v97
	s_delay_alu instid0(VALU_DEP_2) | instskip(NEXT) | instid1(VALU_DEP_2)
	v_add_f16_e32 v92, v94, v92
	v_add_f16_e32 v96, v97, v96
	v_mul_f16_e64 v97, 0xbbdd, v131
	s_delay_alu instid0(VALU_DEP_3) | instskip(SKIP_1) | instid1(VALU_DEP_3)
	v_add_f16_e32 v41, v41, v92
	v_add_f16_e32 v92, v93, v114
	v_sub_f16_e64 v97, v97, v191
	s_delay_alu instid0(VALU_DEP_3) | instskip(SKIP_1) | instid1(VALU_DEP_4)
	v_add_f16_e32 v41, v45, v41
	v_fma_f16 v45, v176, 0xb461, -v54
	v_add_f16_e32 v54, v92, v109
	s_delay_alu instid0(VALU_DEP_4) | instskip(NEXT) | instid1(VALU_DEP_3)
	v_add_f16_e32 v47, v97, v47
	v_add_f16_e32 v41, v45, v41
	v_fma_f16 v45, v185, 0x2de8, -v55
	s_delay_alu instid0(VALU_DEP_4) | instskip(SKIP_2) | instid1(VALU_DEP_4)
	v_add_f16_e32 v54, v54, v118
	v_pack_b32_f16 v55, v57, v160
	v_pack_b32_f16 v57, v58, v70
	v_add_f16_e32 v41, v45, v41
	s_delay_alu instid0(VALU_DEP_4)
	v_pack_b32_f16 v34, v34, v54
	v_pack_b32_f16 v45, v47, v96
	;; [unrolled: 1-line block ×4, first 2 shown]
	ds_store_2addr_b32 v38, v34, v45 offset1:50
	ds_store_2addr_b32 v38, v47, v54 offset0:100 offset1:150
	ds_store_2addr_b32 v38, v55, v57 offset0:200 offset1:250
	;; [unrolled: 1-line block ×3, first 2 shown]
	v_pack_b32_f16 v34, v140, v240
	v_pack_b32_f16 v33, v33, v41
	v_perm_b32 v41, v84, v29, 0x5040100
	v_perm_b32 v43, v85, v30, 0x5040100
	v_add_nc_u32_e32 v45, 0x600, v38
	v_perm_b32 v47, v86, v27, 0x5040100
	v_perm_b32 v49, v87, v28, 0x5040100
	v_add_nc_u32_e32 v54, 0x800, v38
	v_perm_b32 v55, v88, v25, 0x5040100
	v_perm_b32 v57, v91, v89, 0x5040100
	ds_store_2addr_b32 v50, v34, v33 offset0:144 offset1:194
	ds_store_2addr_b32 v45, v41, v43 offset0:116 offset1:166
	;; [unrolled: 1-line block ×4, first 2 shown]
	ds_store_b32 v38, v57 offset:3200
.LBB0_5:
	s_wait_alu 0xfffe
	s_or_b32 exec_lo, exec_lo, s0
	s_add_nc_u64 s[0:1], s[4:5], 0xd48
	global_wb scope:SCOPE_SE
	s_wait_storecnt_dscnt 0x0
	s_barrier_signal -1
	s_barrier_wait -1
	global_inv scope:SCOPE_SE
	s_clause 0x9
	global_load_b32 v33, v[31:32], off offset:3400
	global_load_b32 v34, v38, s[0:1] offset:340
	global_load_b32 v41, v38, s[0:1] offset:680
	;; [unrolled: 1-line block ×9, first 2 shown]
	ds_load_2addr_b32 v[31:32], v38 offset1:85
	v_add_nc_u32_e32 v94, 0x400, v38
	v_add_nc_u32_e32 v93, 0x600, v38
	s_wait_dscnt 0x0
	v_lshrrev_b32_e32 v49, 16, v31
	v_lshrrev_b32_e32 v54, 16, v32
	s_wait_loadcnt 0x9
	v_lshrrev_b32_e32 v50, 16, v33
	s_wait_loadcnt 0x8
	;; [unrolled: 2-line block ×4, first 2 shown]
	v_lshrrev_b32_e32 v96, 16, v45
	v_mul_f16_e32 v71, v49, v50
	v_mul_f16_e32 v50, v31, v50
	;; [unrolled: 1-line block ×4, first 2 shown]
	s_wait_loadcnt 0x4
	v_lshrrev_b32_e32 v97, 16, v47
	v_fma_f16 v31, v31, v33, -v71
	v_fmac_f16_e32 v50, v49, v33
	v_fma_f16 v32, v32, v34, -v92
	v_fmac_f16_e32 v55, v54, v34
	v_add_nc_u32_e32 v92, 0x800, v38
	v_lshrrev_b32_e32 v71, 16, v41
	v_pack_b32_f16 v31, v31, v50
	s_wait_loadcnt 0x3
	v_lshrrev_b32_e32 v98, 16, v56
	v_pack_b32_f16 v32, v32, v55
	s_wait_loadcnt 0x2
	v_lshrrev_b32_e32 v99, 16, v57
	s_wait_loadcnt 0x1
	v_lshrrev_b32_e32 v100, 16, v58
	;; [unrolled: 2-line block ×3, first 2 shown]
	ds_store_2addr_b32 v38, v31, v32 offset1:85
	ds_load_2addr_b32 v[31:32], v38 offset0:170 offset1:255
	ds_load_2addr_b32 v[33:34], v94 offset0:84 offset1:169
	;; [unrolled: 1-line block ×4, first 2 shown]
	s_wait_dscnt 0x3
	v_lshrrev_b32_e32 v102, 16, v31
	v_lshrrev_b32_e32 v104, 16, v32
	s_wait_dscnt 0x2
	v_lshrrev_b32_e32 v106, 16, v33
	v_lshrrev_b32_e32 v108, 16, v34
	;; [unrolled: 3-line block ×4, first 2 shown]
	v_mul_f16_e32 v103, v31, v71
	v_mul_f16_e32 v105, v32, v95
	;; [unrolled: 1-line block ×16, first 2 shown]
	v_fmac_f16_e32 v103, v102, v41
	v_fmac_f16_e32 v105, v104, v43
	v_fma_f16 v31, v31, v41, -v71
	v_fma_f16 v32, v32, v43, -v95
	v_fmac_f16_e32 v107, v106, v45
	v_fmac_f16_e32 v109, v108, v47
	v_fma_f16 v33, v33, v45, -v96
	v_fma_f16 v34, v34, v47, -v97
	;; [unrolled: 4-line block ×4, first 2 shown]
	v_pack_b32_f16 v31, v31, v103
	v_pack_b32_f16 v32, v32, v105
	;; [unrolled: 1-line block ×8, first 2 shown]
	ds_store_2addr_b32 v38, v31, v32 offset0:170 offset1:255
	ds_store_2addr_b32 v94, v33, v34 offset0:84 offset1:169
	;; [unrolled: 1-line block ×4, first 2 shown]
	global_wb scope:SCOPE_SE
	s_wait_dscnt 0x0
	s_barrier_signal -1
	s_barrier_wait -1
	global_inv scope:SCOPE_SE
	ds_load_2addr_b32 v[31:32], v94 offset0:84 offset1:169
	ds_load_2addr_b32 v[33:34], v93 offset0:126 offset1:211
	;; [unrolled: 1-line block ×4, first 2 shown]
	ds_load_2addr_b32 v[56:57], v38 offset1:85
	global_wb scope:SCOPE_SE
	s_wait_dscnt 0x0
	s_barrier_signal -1
	s_barrier_wait -1
	global_inv scope:SCOPE_SE
	v_lshrrev_b32_e32 v47, 16, v31
	v_add_f16_e32 v41, v31, v33
	v_lshrrev_b32_e32 v43, 16, v49
	v_lshrrev_b32_e32 v45, 16, v54
	v_lshrrev_b32_e32 v58, 16, v33
	v_sub_f16_e32 v70, v54, v33
	v_sub_f16_e32 v71, v49, v31
	v_add_f16_e32 v95, v49, v54
	v_sub_f16_e32 v96, v33, v54
	v_sub_f16_e32 v97, v31, v49
	v_pk_add_f16 v98, v56, v49
	v_add_f16_e32 v101, v32, v34
	v_lshrrev_b32_e32 v102, 16, v50
	v_lshrrev_b32_e32 v103, 16, v55
	;; [unrolled: 1-line block ×4, first 2 shown]
	v_add_f16_e32 v108, v50, v55
	v_pk_add_f16 v111, v57, v50
	v_lshrrev_b32_e32 v99, 16, v56
	v_sub_f16_e32 v100, v31, v33
	v_sub_f16_e32 v107, v50, v32
	;; [unrolled: 1-line block ×3, first 2 shown]
	v_lshrrev_b32_e32 v112, 16, v57
	v_sub_f16_e32 v113, v32, v34
	v_fma_f16 v41, -0.5, v41, v56
	v_sub_f16_e32 v114, v43, v45
	v_sub_f16_e32 v115, v47, v58
	v_add_f16_e32 v70, v71, v70
	v_fma_f16 v56, -0.5, v95, v56
	v_add_f16_e32 v71, v97, v96
	v_pk_add_f16 v31, v98, v31
	v_add_f16_e32 v95, v47, v58
	v_sub_f16_e32 v96, v43, v47
	v_sub_f16_e32 v97, v45, v58
	v_add_f16_e32 v98, v43, v45
	v_sub_f16_e32 v43, v47, v43
	v_sub_f16_e32 v45, v58, v45
	v_fma_f16 v47, -0.5, v101, v57
	v_sub_f16_e32 v58, v102, v103
	v_sub_f16_e32 v101, v104, v105
	v_fma_f16 v57, -0.5, v108, v57
	v_pk_add_f16 v32, v111, v32
	v_add_f16_e32 v108, v104, v105
	v_add_f16_e32 v111, v102, v103
	v_sub_f16_e32 v106, v55, v34
	v_sub_f16_e32 v109, v34, v55
	;; [unrolled: 1-line block ×3, first 2 shown]
	v_pk_add_f16 v31, v31, v33
	v_fma_f16 v33, -0.5, v95, v99
	v_add_f16_e32 v95, v96, v97
	v_add_f16_e32 v43, v43, v45
	v_fmamk_f16 v45, v58, 0xbb9c, v47
	v_fmamk_f16 v96, v101, 0x3b9c, v57
	v_fmac_f16_e32 v57, 0xbb9c, v101
	v_pk_add_f16 v32, v32, v34
	v_fma_f16 v97, -0.5, v108, v112
	v_fmac_f16_e32 v112, -0.5, v111
	v_add_f16_e32 v106, v107, v106
	v_add_f16_e32 v107, v110, v109
	v_sub_f16_e32 v109, v102, v104
	v_sub_f16_e32 v110, v103, v105
	;; [unrolled: 1-line block ×4, first 2 shown]
	v_fmac_f16_e32 v99, -0.5, v98
	v_fmac_f16_e32 v47, 0x3b9c, v58
	v_fmac_f16_e32 v45, 0xb8b4, v101
	;; [unrolled: 1-line block ×4, first 2 shown]
	v_pk_add_f16 v32, v32, v55
	v_fmamk_f16 v55, v50, 0x3b9c, v97
	v_fmamk_f16 v58, v113, 0xbb9c, v112
	v_fmac_f16_e32 v112, 0x3b9c, v113
	v_fmac_f16_e32 v97, 0xbb9c, v50
	v_sub_f16_e32 v49, v49, v54
	v_add_f16_e32 v98, v109, v110
	v_add_f16_e32 v102, v102, v103
	v_pk_add_f16 v34, v31, v54
	v_fmamk_f16 v103, v100, 0xbb9c, v99
	v_fmac_f16_e32 v99, 0x3b9c, v100
	v_fmac_f16_e32 v45, 0x34f2, v106
	;; [unrolled: 1-line block ×5, first 2 shown]
	v_fmamk_f16 v104, v114, 0xbb9c, v41
	v_fmac_f16_e32 v41, 0x3b9c, v114
	v_fmamk_f16 v105, v115, 0x3b9c, v56
	v_fmac_f16_e32 v56, 0xbb9c, v115
	v_fmac_f16_e32 v97, 0xb8b4, v113
	v_fmamk_f16 v54, v49, 0x3b9c, v33
	v_fmac_f16_e32 v103, 0x38b4, v49
	v_fmac_f16_e32 v99, 0xb8b4, v49
	v_pk_add_f16 v31, v34, v32
	v_pk_add_f16 v34, v34, v32 neg_lo:[0,1] neg_hi:[0,1]
	v_fmac_f16_e32 v55, 0x34f2, v98
	v_fmac_f16_e32 v58, 0x34f2, v102
	;; [unrolled: 1-line block ×3, first 2 shown]
	v_mul_f16_e32 v32, 0x38b4, v45
	v_fmac_f16_e32 v104, 0xb8b4, v115
	v_fmac_f16_e32 v41, 0x38b4, v115
	;; [unrolled: 1-line block ×12, first 2 shown]
	v_mul_f16_e32 v43, 0xb8b4, v55
	v_mul_f16_e32 v49, 0xbb9c, v58
	;; [unrolled: 1-line block ×3, first 2 shown]
	v_fmac_f16_e32 v32, 0x3a79, v55
	v_mul_f16_e32 v55, 0x34f2, v58
	v_mul_f16_e32 v58, 0xb4f2, v112
	v_fmac_f16_e32 v104, 0x34f2, v70
	v_fmac_f16_e32 v41, 0x34f2, v70
	;; [unrolled: 1-line block ×6, first 2 shown]
	v_mul_f16_e32 v70, 0xb8b4, v97
	v_mul_f16_e32 v71, 0xba79, v97
	v_fmac_f16_e32 v54, 0x34f2, v95
	v_fmac_f16_e32 v43, 0x3a79, v45
	;; [unrolled: 1-line block ×9, first 2 shown]
	v_add_f16_e32 v45, v54, v32
	v_sub_f16_e32 v47, v54, v32
	v_add_f16_e32 v32, v104, v43
	v_add_f16_e32 v54, v105, v49
	v_add_f16_e32 v57, v56, v50
	v_add_f16_e32 v96, v103, v55
	v_add_f16_e32 v97, v99, v58
	v_add_f16_e32 v95, v41, v70
	v_add_f16_e32 v98, v33, v71
	v_sub_f16_e32 v43, v104, v43
	v_sub_f16_e32 v100, v105, v49
	;; [unrolled: 1-line block ×7, first 2 shown]
	v_pack_b32_f16 v50, v57, v97
	v_pack_b32_f16 v49, v54, v96
	;; [unrolled: 1-line block ×8, first 2 shown]
	ds_store_2addr_b64 v61, v[31:32], v[49:50] offset1:1
	ds_store_2addr_b64 v61, v[33:34], v[54:55] offset0:2 offset1:3
	ds_store_b64 v61, v[56:57] offset:32
	global_wb scope:SCOPE_SE
	s_wait_dscnt 0x0
	s_barrier_signal -1
	s_barrier_wait -1
	global_inv scope:SCOPE_SE
	ds_load_2addr_b32 v[31:32], v38 offset1:85
	ds_load_2addr_b32 v[33:34], v38 offset0:170 offset1:255
	ds_load_2addr_b32 v[54:55], v94 offset0:84 offset1:169
	;; [unrolled: 1-line block ×4, first 2 shown]
	global_wb scope:SCOPE_SE
	s_wait_dscnt 0x0
	s_barrier_signal -1
	s_barrier_wait -1
	global_inv scope:SCOPE_SE
	v_lshrrev_b32_e32 v43, 16, v31
	v_lshrrev_b32_e32 v41, 16, v33
	;; [unrolled: 1-line block ×8, first 2 shown]
	v_mul_f16_e32 v97, v69, v33
	v_mul_f16_e32 v98, v68, v54
	;; [unrolled: 1-line block ×4, first 2 shown]
	v_lshrrev_b32_e32 v58, 16, v34
	v_mul_f16_e32 v68, v68, v45
	v_mul_f16_e32 v67, v67, v47
	;; [unrolled: 1-line block ×8, first 2 shown]
	v_fma_f16 v41, v4, v41, -v97
	v_fma_f16 v45, v5, v45, -v98
	;; [unrolled: 1-line block ×4, first 2 shown]
	v_mul_f16_e32 v64, v64, v61
	v_mul_f16_e32 v63, v63, v70
	;; [unrolled: 1-line block ×4, first 2 shown]
	v_fmac_f16_e32 v68, v5, v54
	v_fmac_f16_e32 v67, v6, v56
	v_lshrrev_b32_e32 v49, 16, v32
	v_fma_f16 v58, v0, v58, -v101
	v_fmac_f16_e32 v69, v4, v33
	v_fmac_f16_e32 v66, v7, v95
	v_fma_f16 v61, v1, v61, -v102
	v_fma_f16 v70, v2, v70, -v103
	v_fma_f16 v71, v3, v71, -v104
	v_fmac_f16_e32 v64, v1, v55
	v_fmac_f16_e32 v63, v2, v57
	;; [unrolled: 1-line block ×3, first 2 shown]
	v_sub_f16_e32 v3, v41, v45
	v_sub_f16_e32 v4, v97, v47
	v_fmac_f16_e32 v50, v0, v34
	v_sub_f16_e32 v6, v45, v41
	v_sub_f16_e32 v33, v47, v97
	v_add_f16_e32 v0, v43, v41
	v_add_f16_e32 v1, v45, v47
	;; [unrolled: 1-line block ×6, first 2 shown]
	v_sub_f16_e32 v2, v41, v97
	v_add_f16_e32 v41, v61, v70
	v_add_f16_e32 v107, v3, v4
	v_add_f16_e32 v3, v64, v63
	v_add_f16_e32 v95, v58, v71
	v_add_f16_e32 v108, v6, v33
	v_add_f16_e32 v33, v50, v62
	v_sub_f16_e32 v7, v45, v47
	v_sub_f16_e32 v54, v58, v71
	v_sub_f16_e32 v56, v58, v61
	v_sub_f16_e32 v57, v71, v70
	v_sub_f16_e32 v58, v61, v58
	v_sub_f16_e32 v96, v70, v71
	v_add_f16_e32 v98, v31, v69
	v_add_f16_e32 v0, v0, v45
	v_fma_f16 v45, -0.5, v1, v43
	v_sub_f16_e32 v105, v69, v66
	v_add_f16_e32 v1, v32, v50
	v_fma_f16 v6, -0.5, v99, v31
	v_sub_f16_e32 v55, v61, v70
	v_sub_f16_e32 v106, v68, v67
	v_fmac_f16_e32 v43, -0.5, v5
	v_add_f16_e32 v61, v34, v61
	v_fma_f16 v34, -0.5, v102, v31
	v_sub_f16_e32 v100, v69, v68
	v_sub_f16_e32 v103, v68, v69
	;; [unrolled: 1-line block ×6, first 2 shown]
	v_fma_f16 v65, -0.5, v41, v49
	v_sub_f16_e32 v110, v50, v62
	v_fma_f16 v3, -0.5, v3, v32
	v_sub_f16_e32 v111, v64, v63
	v_fmac_f16_e32 v49, -0.5, v95
	v_fmac_f16_e32 v32, -0.5, v33
	v_sub_f16_e32 v101, v66, v67
	v_add_f16_e32 v56, v56, v57
	v_add_f16_e32 v57, v58, v96
	;; [unrolled: 1-line block ×4, first 2 shown]
	v_fmamk_f16 v50, v105, 0x3b9c, v45
	v_add_f16_e32 v47, v1, v64
	v_fmamk_f16 v1, v2, 0xbb9c, v6
	v_sub_f16_e32 v104, v67, v66
	v_fmamk_f16 v41, v106, 0xbb9c, v43
	v_fmac_f16_e32 v43, 0x3b9c, v106
	v_fmamk_f16 v33, v7, 0x3b9c, v34
	v_fmac_f16_e32 v34, 0xbb9c, v7
	v_fmac_f16_e32 v45, 0xbb9c, v105
	v_fmac_f16_e32 v6, 0x3b9c, v2
	v_add_f16_e32 v64, v4, v5
	v_add_f16_e32 v96, v69, v109
	v_fmamk_f16 v69, v110, 0x3b9c, v65
	v_fmamk_f16 v4, v54, 0xbb9c, v3
	v_add_f16_e32 v61, v61, v70
	v_fmamk_f16 v70, v111, 0xbb9c, v49
	v_fmac_f16_e32 v49, 0x3b9c, v111
	v_fmamk_f16 v5, v55, 0x3b9c, v32
	v_fmac_f16_e32 v32, 0xbb9c, v55
	v_add_f16_e32 v68, v100, v101
	v_fmac_f16_e32 v65, 0xbb9c, v110
	v_add_f16_e32 v58, v58, v67
	v_fmac_f16_e32 v50, 0x38b4, v106
	v_fmac_f16_e32 v3, 0x3b9c, v54
	;; [unrolled: 1-line block ×3, first 2 shown]
	v_add_f16_e32 v95, v103, v104
	v_fmac_f16_e32 v41, 0x38b4, v105
	v_fmac_f16_e32 v43, 0xb8b4, v105
	;; [unrolled: 1-line block ×6, first 2 shown]
	v_add_f16_e32 v63, v47, v63
	v_fmac_f16_e32 v69, 0x38b4, v111
	v_fmac_f16_e32 v4, 0xb8b4, v55
	;; [unrolled: 1-line block ×6, first 2 shown]
	v_add_f16_e32 v31, v0, v97
	v_fmac_f16_e32 v65, 0xb8b4, v111
	v_add_f16_e32 v0, v58, v66
	v_fmac_f16_e32 v50, 0x34f2, v107
	v_fmac_f16_e32 v3, 0x38b4, v55
	;; [unrolled: 1-line block ×9, first 2 shown]
	v_add_f16_e32 v47, v61, v71
	v_add_f16_e32 v7, v63, v62
	v_fmac_f16_e32 v69, 0x34f2, v56
	v_fmac_f16_e32 v4, 0x34f2, v64
	;; [unrolled: 1-line block ×8, first 2 shown]
	v_pack_b32_f16 v2, v0, v31
	v_pack_b32_f16 v55, v1, v50
	;; [unrolled: 1-line block ×10, first 2 shown]
	ds_store_2addr_b32 v60, v2, v55 offset1:10
	ds_store_2addr_b32 v60, v56, v57 offset0:20 offset1:30
	ds_store_b32 v60, v58 offset:160
	ds_store_2addr_b32 v59, v54, v61 offset1:10
	ds_store_2addr_b32 v59, v62, v63 offset0:20 offset1:30
	ds_store_b32 v59, v64 offset:160
	global_wb scope:SCOPE_SE
	s_wait_dscnt 0x0
	s_barrier_signal -1
	s_barrier_wait -1
	global_inv scope:SCOPE_SE
	s_and_saveexec_b32 s0, vcc_lo
	s_cbranch_execz .LBB0_7
; %bb.6:
	ds_load_2addr_b32 v[0:1], v38 offset1:50
	ds_load_2addr_b32 v[33:34], v38 offset0:100 offset1:150
	ds_load_2addr_b32 v[6:7], v38 offset0:200 offset1:250
	;; [unrolled: 1-line block ×7, first 2 shown]
	ds_load_b32 v89, v38 offset:3200
	s_wait_dscnt 0x8
	v_lshrrev_b32_e32 v31, 16, v0
	v_lshrrev_b32_e32 v50, 16, v1
	s_wait_dscnt 0x7
	v_lshrrev_b32_e32 v41, 16, v33
	v_lshrrev_b32_e32 v43, 16, v34
	;; [unrolled: 3-line block ×8, first 2 shown]
	s_wait_dscnt 0x0
	v_lshrrev_b32_e32 v91, 16, v89
	v_mov_b32_e32 v32, v2
.LBB0_7:
	s_wait_alu 0xfffe
	s_or_b32 exec_lo, exec_lo, s0
	s_and_saveexec_b32 s0, vcc_lo
	s_cbranch_execz .LBB0_9
; %bb.8:
	v_mul_f16_e32 v2, v82, v89
	v_mul_f16_e32 v54, v83, v1
	;; [unrolled: 1-line block ×5, first 2 shown]
	v_fma_f16 v59, v23, v91, -v2
	v_fma_f16 v50, v8, v50, -v54
	v_mul_f16_e32 v2, v36, v26
	v_mul_f16_e32 v54, v79, v33
	v_fmac_f16_e32 v56, v8, v1
	v_fmac_f16_e32 v60, v23, v89
	v_add_f16_e32 v58, v59, v50
	v_fma_f16 v23, v22, v90, -v2
	v_fma_f16 v55, v9, v41, -v54
	v_mul_f16_e32 v36, v36, v90
	v_sub_f16_e32 v1, v56, v60
	v_mul_f16_e32 v41, 0xbbdd, v58
	v_mul_f16_e32 v2, v35, v25
	;; [unrolled: 1-line block ×3, first 2 shown]
	v_fmac_f16_e32 v62, v9, v33
	v_mul_f16_e32 v33, v35, v88
	v_add_f16_e32 v99, v23, v55
	v_fmamk_f16 v54, v1, 0x31e1, v41
	v_fmac_f16_e32 v36, v22, v26
	v_fma_f16 v26, v21, v88, -v2
	v_fma_f16 v61, v10, v43, -v8
	v_mul_f16_e32 v66, v77, v43
	v_fmac_f16_e32 v33, v21, v25
	v_mul_f16_e32 v21, v81, v28
	v_mul_f16_e32 v22, v75, v6
	;; [unrolled: 1-line block ×3, first 2 shown]
	v_sub_f16_e32 v8, v62, v36
	v_add_f16_e32 v104, v26, v61
	v_fmac_f16_e32 v66, v10, v34
	v_add_f16_e32 v9, v31, v54
	v_fma_f16 v35, v20, v87, -v21
	v_fma_f16 v64, v11, v45, -v22
	v_mul_f16_e32 v67, v75, v45
	v_mul_f16_e32 v54, v81, v87
	;; [unrolled: 1-line block ×5, first 2 shown]
	v_fmamk_f16 v10, v8, 0xb5c8, v43
	v_mul_f16_e32 v34, 0xbacd, v104
	v_sub_f16_e32 v2, v66, v33
	v_add_f16_e64 v131, v35, v64
	v_fmac_f16_e32 v67, v11, v6
	v_fmac_f16_e32 v54, v20, v28
	v_fma_f16 v28, v19, v86, -v21
	v_fma_f16 v68, v12, v47, -v22
	v_mul_f16_e32 v63, v80, v86
	v_fmac_f16_e32 v74, v12, v7
	v_mul_f16_e32 v11, v78, v30
	v_mul_f16_e32 v12, v72, v4
	v_add_f16_e32 v9, v10, v9
	v_fmamk_f16 v10, v2, 0x3836, v34
	v_mul_f16_e64 v45, 0x39e9, v131
	v_sub_f16_e32 v6, v67, v54
	v_add_f16_e64 v142, v28, v68
	v_fmac_f16_e32 v63, v19, v27
	v_fma_f16 v57, v18, v85, -v11
	v_fma_f16 v75, v13, v69, -v12
	v_mul_f16_e32 v86, v72, v69
	v_mul_f16_e32 v72, v78, v85
	;; [unrolled: 1-line block ×4, first 2 shown]
	v_add_f16_e32 v9, v10, v9
	v_fmamk_f16 v10, v6, 0xb964, v45
	v_mul_f16_e64 v47, 0xb8d2, v142
	v_sub_f16_e32 v7, v74, v63
	v_add_f16_e64 v165, v57, v75
	v_fmac_f16_e32 v86, v13, v4
	v_fmac_f16_e32 v72, v18, v30
	v_fma_f16 v69, v17, v84, -v11
	v_fma_f16 v87, v14, v70, -v12
	v_mul_f16_e32 v95, v73, v70
	v_mul_f16_e32 v89, v76, v84
	v_add_f16_e32 v9, v10, v9
	v_fmamk_f16 v10, v7, 0x3a62, v47
	v_mul_f16_e64 v30, 0x3722, v165
	v_sub_f16_e32 v4, v86, v72
	v_add_f16_e32 v112, v69, v87
	v_fmac_f16_e32 v95, v14, v5
	v_fmac_f16_e32 v89, v17, v29
	v_add_f16_e32 v9, v10, v9
	v_fmamk_f16 v10, v4, 0xbb29, v30
	v_mul_f16_e32 v29, 0xb461, v112
	v_sub_f16_e64 v162, v50, v59
	v_sub_f16_e32 v5, v95, v89
	v_sub_f16_e64 v150, v55, v23
	v_add_f16_e32 v10, v10, v9
	v_add_f16_e32 v9, v60, v56
	v_mul_f16_e64 v77, 0xb1e1, v162
	v_fmamk_f16 v11, v5, 0x3bb2, v29
	v_mul_f16_e64 v78, 0x35c8, v150
	v_lshrrev_b32_e32 v20, 16, v16
	v_sub_f16_e64 v157, v61, v26
	v_lshrrev_b32_e32 v19, 16, v15
	v_add_f16_e32 v14, v11, v10
	v_fmamk_f16 v11, v9, 0xbbdd, v77
	v_add_f16_e32 v10, v36, v62
	v_mul_f16_e32 v12, v20, v3
	v_mul_f16_e32 v13, v19, v32
	v_mul_f16_e64 v81, 0xb836, v157
	v_add_f16_e32 v17, v0, v11
	v_fmamk_f16 v18, v10, 0x3b76, v78
	v_add_f16_e32 v11, v33, v66
	v_sub_f16_e64 v159, v64, v35
	v_fma_f16 v126, v16, v65, -v12
	v_fma_f16 v141, v15, v49, -v13
	v_add_f16_e32 v13, v18, v17
	v_fmamk_f16 v17, v11, 0xbacd, v81
	v_add_f16_e32 v12, v54, v67
	v_mul_f16_e64 v84, 0x3964, v159
	v_sub_f16_e64 v160, v68, v28
	v_mul_f16_e64 v155, v19, v49
	v_mul_f16_e64 v156, v20, v65
	v_add_f16_e32 v17, v17, v13
	v_fmamk_f16 v18, v12, 0x39e9, v84
	v_add_f16_e32 v13, v63, v74
	v_mul_f16_e64 v79, 0xba62, v160
	v_fmac_f16_e64 v155, v15, v32
	v_fmac_f16_e64 v156, v16, v3
	v_add_f16_e32 v15, v18, v17
	v_mul_f16_e32 v93, 0xbacd, v58
	v_fmamk_f16 v16, v13, 0xb8d2, v79
	v_sub_f16_e64 v182, v75, v57
	v_mul_f16_e32 v94, 0x3722, v99
	v_sub_f16_e64 v181, v87, v69
	v_mul_f16_e32 v83, 0x2de8, v104
	v_add_f16_e32 v17, v16, v15
	v_fmamk_f16 v16, v1, 0x3836, v93
	v_add_f16_e32 v15, v72, v86
	v_mul_f16_e64 v96, 0x3b29, v182
	v_fmamk_f16 v19, v8, 0xbb29, v94
	v_add_f16_e64 v166, v126, v141
	v_add_f16_e32 v18, v31, v16
	v_add_f16_e32 v16, v89, v95
	v_fmamk_f16 v20, v15, 0x3722, v96
	v_mul_f16_e64 v88, 0xbbb2, v181
	v_mul_f16_e64 v85, 0xb8d2, v131
	v_add_f16_e32 v18, v19, v18
	v_fmamk_f16 v19, v2, 0x3bf7, v83
	v_mul_f16_e64 v71, 0x2de8, v166
	v_sub_f16_e64 v3, v155, v156
	v_add_f16_e32 v17, v20, v17
	v_fmamk_f16 v20, v16, 0xb461, v88
	v_add_f16_e32 v18, v19, v18
	v_fmamk_f16 v19, v6, 0xba62, v85
	v_mul_f16_e64 v73, 0x3b76, v142
	v_sub_f16_e64 v190, v141, v126
	v_fmamk_f16 v21, v3, 0xbbf7, v71
	v_add_f16_e32 v20, v20, v17
	v_add_f16_e32 v18, v19, v18
	v_fmamk_f16 v19, v7, 0x35c8, v73
	v_mul_f16_e64 v76, 0xbbdd, v165
	v_add_f16_e64 v17, v156, v155
	v_mul_f16_e64 v90, 0x3bf7, v190
	v_mul_f16_e64 v106, 0xb836, v162
	v_add_f16_e32 v14, v21, v14
	v_add_f16_e32 v18, v19, v18
	v_fmamk_f16 v19, v4, 0x31e1, v76
	v_mul_f16_e32 v80, 0x39e9, v112
	v_fmamk_f16 v21, v17, 0x2de8, v90
	v_fmamk_f16 v22, v9, 0xbacd, v106
	v_mul_f16_e64 v107, 0x3b29, v150
	v_add_f16_e32 v19, v19, v18
	v_fmamk_f16 v25, v5, 0xb964, v80
	v_add_f16_e32 v18, v21, v20
	v_add_f16_e32 v20, v0, v22
	v_fmamk_f16 v21, v10, 0x3722, v107
	v_mul_f16_e64 v108, 0xbbf7, v157
	v_mul_f16_e32 v109, 0xb8d2, v58
	v_add_f16_e32 v19, v25, v19
	v_mul_f16_e64 v117, 0x3a62, v159
	v_add_f16_e32 v20, v21, v20
	v_fmamk_f16 v21, v11, 0x2de8, v108
	v_fmamk_f16 v25, v1, 0x3a62, v109
	v_mul_f16_e32 v110, 0xb461, v99
	v_mul_f16_e64 v118, 0xb5c8, v160
	v_mul_f16_e32 v111, 0x3b76, v104
	v_add_f16_e32 v20, v21, v20
	v_fmamk_f16 v21, v12, 0xb8d2, v117
	v_add_f16_e32 v25, v31, v25
	v_fmamk_f16 v27, v8, 0xbbb2, v110
	v_mul_f16_e64 v70, 0xb461, v166
	v_mul_f16_e64 v119, 0xb1e1, v182
	v_add_f16_e32 v20, v21, v20
	v_fmamk_f16 v21, v13, 0x3b76, v118
	v_add_f16_e32 v25, v27, v25
	v_fmamk_f16 v27, v2, 0x35c8, v111
	v_mul_f16_e64 v100, 0xbacd, v131
	v_fmamk_f16 v22, v3, 0x3bb2, v70
	v_add_f16_e32 v20, v21, v20
	v_fmamk_f16 v21, v15, 0xbbdd, v119
	v_mul_f16_e64 v102, 0x3964, v181
	v_add_f16_e32 v25, v27, v25
	v_fmamk_f16 v27, v6, 0x3836, v100
	v_mul_f16_e64 v101, 0x2de8, v142
	v_add_f16_e32 v20, v21, v20
	v_fmamk_f16 v21, v16, 0x39e9, v102
	v_add_f16_e32 v19, v22, v19
	v_add_f16_e32 v22, v27, v25
	v_fmamk_f16 v25, v7, 0xbbf7, v101
	v_mul_f16_e64 v92, 0x39e9, v165
	v_mul_f16_e64 v103, 0xbbb2, v190
	;; [unrolled: 1-line block ×3, first 2 shown]
	v_add_f16_e32 v20, v21, v20
	v_add_f16_e32 v21, v25, v22
	v_fmamk_f16 v22, v4, 0x3964, v92
	v_mul_f16_e32 v97, 0xbbdd, v112
	v_fmamk_f16 v25, v17, 0xb461, v103
	v_fmamk_f16 v27, v9, 0xb8d2, v127
	v_mul_f16_e64 v128, 0x3bb2, v150
	v_add_f16_e32 v21, v22, v21
	v_fmamk_f16 v22, v5, 0x31e1, v97
	v_add_f16_e32 v20, v25, v20
	v_add_f16_e32 v25, v0, v27
	v_fma_f16 v27, 0xb461, v10, v128
	v_mul_f16_e64 v129, 0xb5c8, v157
	v_mul_f16_e64 v132, 0xb461, v58
	v_add_f16_e32 v21, v22, v21
	v_mul_f16_e64 v138, 0xb836, v159
	v_add_f16_e32 v22, v27, v25
	v_fma_f16 v25, 0x3b76, v11, v129
	v_fma_f16 v32, 0x3bb2, v1, v132
	v_mul_f16_e64 v133, 0xbacd, v99
	v_mul_f16_e64 v139, 0x3bf7, v160
	v_mul_f16_e32 v115, 0x39e9, v104
	v_add_f16_e32 v22, v25, v22
	v_fma_f16 v25, 0xbacd, v12, v138
	v_add_f16_e32 v32, v31, v32
	v_fma_f16 v49, 0xb836, v8, v133
	v_mul_f16_e64 v82, 0x3722, v166
	v_mul_f16_e64 v121, 0xb964, v182
	v_add_f16_e32 v22, v25, v22
	v_fma_f16 v25, 0x2de8, v13, v139
	v_add_f16_e32 v32, v49, v32
	v_fmamk_f16 v49, v2, 0xb964, v115
	v_mul_f16_e64 v116, 0x3722, v131
	v_fmamk_f16 v27, v3, 0xbb29, v82
	v_add_f16_e32 v22, v25, v22
	v_fmamk_f16 v25, v15, 0x39e9, v121
	v_mul_f16_e64 v122, 0xb1e1, v181
	v_add_f16_e32 v32, v49, v32
	v_fmamk_f16 v49, v6, 0x3b29, v116
	v_mul_f16_e64 v120, 0xbbdd, v142
	v_add_f16_e32 v22, v25, v22
	v_fmamk_f16 v25, v16, 0xbbdd, v122
	v_add_f16_e32 v21, v27, v21
	v_add_f16_e32 v27, v49, v32
	v_fmamk_f16 v32, v7, 0x31e1, v120
	v_mul_f16_e64 v105, 0x2de8, v165
	v_mul_f16_e64 v123, 0x3b29, v190
	;; [unrolled: 1-line block ×3, first 2 shown]
	v_add_f16_e32 v22, v25, v22
	v_add_f16_e32 v25, v32, v27
	v_fmamk_f16 v27, v4, 0xbbf7, v105
	v_mul_f16_e32 v113, 0x3b76, v112
	v_fmamk_f16 v32, v17, 0x3722, v123
	v_fma_f16 v49, 0xb461, v9, v153
	v_mul_f16_e64 v154, 0x3836, v150
	v_add_f16_e32 v25, v27, v25
	v_fmamk_f16 v27, v5, 0x35c8, v113
	v_add_f16_e32 v22, v32, v22
	v_add_f16_e32 v32, v0, v49
	v_fma_f16 v49, 0xbacd, v10, v154
	v_mul_f16_e64 v158, 0x3964, v157
	v_mul_f16_e64 v151, 0x2de8, v58
	v_add_f16_e32 v25, v27, v25
	v_mul_f16_e64 v169, 0xbb29, v159
	v_add_f16_e32 v27, v49, v32
	v_fma_f16 v32, 0x39e9, v11, v158
	v_fma_f16 v65, 0x3bf7, v1, v151
	v_mul_f16_e64 v152, 0xbbdd, v99
	v_mul_f16_e64 v163, 0xb1e1, v160
	;; [unrolled: 1-line block ×3, first 2 shown]
	v_add_f16_e32 v27, v32, v27
	v_fma_f16 v32, 0x3722, v12, v169
	v_add_f16_e32 v65, v31, v65
	v_fma_f16 v91, 0x31e1, v8, v152
	v_mul_f16_e64 v98, 0xb8d2, v166
	v_mul_f16_e64 v164, 0x3bf7, v182
	v_add_f16_e32 v27, v32, v27
	v_fma_f16 v32, 0xbbdd, v13, v163
	v_add_f16_e32 v65, v91, v65
	v_fma_f16 v91, 0xbbb2, v2, v136
	v_mul_f16_e64 v137, 0x3b76, v131
	v_fmamk_f16 v49, v3, 0x3a62, v98
	v_add_f16_e32 v27, v32, v27
	v_fma_f16 v32, 0x2de8, v15, v164
	v_mul_f16_e64 v148, 0xb5c8, v181
	v_add_f16_e32 v65, v91, v65
	v_fma_f16 v91, 0xb5c8, v6, v137
	v_mul_f16_e64 v124, 0x3722, v142
	v_add_f16_e32 v27, v32, v27
	v_fma_f16 v32, 0x3b76, v16, v148
	v_add_f16_e32 v25, v49, v25
	v_add_f16_e32 v49, v91, v65
	v_fmamk_f16 v65, v7, 0x3b29, v124
	v_mul_f16_e64 v125, 0xbacd, v165
	v_mul_f16_e64 v149, 0xba62, v190
	;; [unrolled: 1-line block ×3, first 2 shown]
	v_add_f16_e32 v27, v32, v27
	v_add_f16_e32 v32, v65, v49
	v_fmamk_f16 v49, v4, 0x3836, v125
	v_mul_f16_e64 v130, 0xb8d2, v112
	v_fma_f16 v65, 0xb8d2, v17, v149
	v_fma_f16 v91, 0x2de8, v9, v168
	v_mul_f16_e64 v170, 0xb1e1, v150
	v_add_f16_e32 v32, v49, v32
	v_fma_f16 v49, 0xba62, v5, v130
	v_add_f16_e32 v27, v65, v27
	v_add_f16_e32 v65, v0, v91
	v_fma_f16 v91, 0xbbdd, v10, v170
	v_mul_f16_e64 v171, 0x3bb2, v157
	v_mul_f16_e64 v175, 0x3722, v58
	v_add_f16_e32 v32, v49, v32
	v_mul_f16_e64 v178, 0x35c8, v159
	v_add_f16_e32 v49, v91, v65
	v_fma_f16 v65, 0xb461, v11, v171
	v_fma_f16 v114, 0x3b29, v1, v175
	v_mul_f16_e64 v176, 0xb8d2, v99
	v_mul_f16_e64 v179, 0xbb29, v160
	v_mul_f16_e64 v177, 0xbbdd, v104
	v_add_f16_e32 v49, v65, v49
	v_fma_f16 v65, 0x3b76, v12, v178
	v_add_f16_e32 v114, v31, v114
	v_fma_f16 v134, 0x3a62, v8, v176
	v_mul_f16_e64 v140, 0x39e9, v166
	v_mul_f16_e64 v180, 0xb836, v182
	v_add_f16_e32 v49, v65, v49
	v_fma_f16 v65, 0x3722, v13, v179
	v_add_f16_e64 v114, v134, v114
	v_fma_f16 v134, 0xb1e1, v2, v177
	v_mul_f16_e64 v161, 0xb461, v131
	v_fma_f16 v91, 0xb964, v3, v140
	v_add_f16_e32 v49, v65, v49
	v_fma_f16 v65, 0xbacd, v15, v180
	v_mul_f16_e64 v144, 0x3a62, v181
	v_add_f16_e64 v114, v134, v114
	v_fma_f16 v134, 0xbbb2, v6, v161
	v_mul_f16_e64 v145, 0x39e9, v142
	v_add_f16_e32 v49, v65, v49
	v_fma_f16 v65, 0xb8d2, v16, v144
	v_add_f16_e32 v32, v91, v32
	v_add_f16_e64 v91, v134, v114
	v_fma_f16 v114, 0xb964, v7, v145
	v_mul_f16_e64 v143, 0x3b76, v165
	v_mul_f16_e64 v195, 0x39e9, v58
	v_add_f16_e32 v49, v65, v49
	v_mul_f16_e64 v146, 0x2de8, v112
	v_add_f16_e32 v65, v114, v91
	v_fma_f16 v91, 0x35c8, v4, v143
	v_fma_f16 v167, 0x3964, v1, v195
	v_mul_f16_e64 v196, 0x2de8, v99
	v_mul_f16_e64 v135, 0x3964, v190
	;; [unrolled: 1-line block ×3, first 2 shown]
	v_add_f16_e32 v91, v91, v65
	v_fma_f16 v147, 0x3bf7, v5, v146
	v_add_f16_e64 v167, v31, v167
	v_fma_f16 v174, 0x3bf7, v8, v196
	v_mul_f16_e64 v197, 0xb8d2, v104
	v_fma_f16 v114, 0x39e9, v17, v135
	v_fma_f16 v134, 0x3722, v9, v185
	v_add_f16_e64 v91, v147, v91
	v_mul_f16_e64 v147, 0xbacd, v166
	v_add_f16_e64 v167, v174, v167
	v_fma_f16 v174, 0x3a62, v2, v197
	v_mul_f16_e64 v198, 0xbbdd, v131
	v_add_f16_e32 v65, v114, v49
	v_add_f16_e64 v49, v0, v134
	v_fma_f16 v134, 0x3836, v3, v147
	v_add_f16_e64 v167, v174, v167
	v_fma_f16 v174, 0x31e1, v6, v198
	v_mul_f16_e64 v199, 0xbacd, v142
	v_mul_f16_e64 v200, 0xb461, v165
	v_add_f16_e64 v91, v134, v91
	v_mul_f16_e64 v183, 0x3722, v112
	v_add_f16_e64 v134, v174, v167
	v_fma_f16 v167, 0xb836, v7, v199
	v_add_f16_e32 v56, v0, v56
	v_fmac_f16_e32 v41, 0xb1e1, v1
	v_fma_f16 v193, 0xbb29, v5, v183
	v_fmac_f16_e32 v43, 0x35c8, v8
	v_add_f16_e64 v134, v167, v134
	v_fma_f16 v167, 0xbbb2, v4, v200
	v_add_f16_e64 v208, v62, v56
	v_add_f16_e32 v41, v31, v41
	v_fmac_f16_e32 v34, 0xb836, v2
	v_fmac_f16_e32 v45, 0x3964, v6
	v_add_f16_e64 v134, v167, v134
	v_add_f16_e64 v66, v66, v208
	v_add_f16_e32 v41, v43, v41
	v_fmac_f16_e32 v47, 0xba62, v7
	v_fmac_f16_e32 v30, 0x3b29, v4
	v_add_f16_e64 v202, v193, v134
	v_mul_f16_e64 v134, 0x3b76, v166
	v_add_f16_e32 v66, v67, v66
	v_add_f16_e32 v34, v34, v41
	v_fmac_f16_e32 v93, 0xb836, v1
	v_fmac_f16_e32 v29, 0xbbb2, v5
	v_fma_f16 v203, 0xb5c8, v3, v134
	v_add_f16_e32 v66, v74, v66
	v_add_f16_e32 v34, v45, v34
	v_fmac_f16_e32 v94, 0x3b29, v8
	v_fmac_f16_e32 v83, 0xbbf7, v2
	v_add_f16_e64 v56, v203, v202
	v_add_f16_e64 v203, v50, v31
	v_add_f16_e32 v66, v86, v66
	v_fmac_f16_e32 v85, 0x3a62, v6
	v_fmac_f16_e32 v109, 0xba62, v1
	;; [unrolled: 1-line block ×3, first 2 shown]
	v_add_f16_e64 v55, v55, v203
	v_add_f16_e32 v66, v95, v66
	v_fmac_f16_e32 v111, 0xb5c8, v2
	v_fmac_f16_e32 v100, 0xb836, v6
	;; [unrolled: 1-line block ×3, first 2 shown]
	v_add_f16_e32 v55, v61, v55
	v_add_f16_e64 v66, v155, v66
	v_fmac_f16_e64 v132, 0xbbb2, v1
	v_mul_f16_e64 v172, 0xba62, v150
	v_fmac_f16_e64 v133, 0x3836, v8
	v_add_f16_e32 v55, v64, v55
	v_add_f16_e64 v66, v156, v66
	v_add_f16_e64 v45, v31, v132
	v_fma_f16 v114, 0xb8d2, v10, v172
	v_mul_f16_e64 v173, 0x31e1, v157
	v_add_f16_e32 v68, v68, v55
	v_add_f16_e32 v66, v89, v66
	v_fmac_f16_e32 v115, 0x3964, v2
	v_add_f16_e32 v49, v114, v49
	v_fma_f16 v114, 0xbbdd, v11, v173
	v_add_f16_e32 v68, v75, v68
	v_add_f16_e32 v66, v72, v66
	v_mul_f16_e64 v186, 0x3bb2, v159
	v_fmac_f16_e32 v116, 0xbb29, v6
	v_add_f16_e32 v49, v114, v49
	v_add_f16_e32 v68, v87, v68
	;; [unrolled: 1-line block ×3, first 2 shown]
	v_fma_f16 v114, 0xb461, v12, v186
	v_mul_f16_e64 v187, 0x3964, v160
	v_fmac_f16_e32 v120, 0xb1e1, v7
	v_add_f16_e64 v68, v141, v68
	v_add_f16_e32 v54, v54, v63
	v_fma_f16 v63, v9, 0xbbdd, -v77
	v_add_f16_e32 v49, v114, v49
	v_fma_f16 v114, 0x39e9, v13, v187
	v_add_f16_e32 v68, v126, v68
	v_add_f16_e32 v33, v33, v54
	;; [unrolled: 1-line block ×3, first 2 shown]
	v_fma_f16 v54, v10, 0x3b76, -v78
	v_mul_f16_e64 v188, 0xb5c8, v182
	v_add_f16_e32 v66, v69, v68
	v_add_f16_e32 v33, v36, v33
	v_fma_f16 v36, v11, 0xbacd, -v81
	v_fmac_f16_e64 v151, 0xbbf7, v1
	v_add_f16_e32 v49, v114, v49
	v_add_f16_e32 v57, v57, v66
	v_fma_f16 v114, 0x3b76, v15, v188
	v_mul_f16_e64 v189, 0xbbf7, v181
	v_fmac_f16_e64 v152, 0xb1e1, v8
	v_fmac_f16_e64 v136, 0x3bb2, v2
	v_add_f16_e32 v28, v28, v57
	v_add_f16_e32 v49, v114, v49
	v_fma_f16 v114, 0x2de8, v16, v189
	v_mul_f16_e64 v174, 0xb836, v190
	v_fmac_f16_e64 v137, 0x35c8, v6
	v_add_f16_e32 v28, v35, v28
	v_add_f16_e32 v35, v54, v41
	v_fma_f16 v41, v10, 0xb461, -v128
	v_add_f16_e64 v54, v31, v151
	v_add_f16_e32 v114, v114, v49
	v_add_f16_e32 v26, v26, v28
	;; [unrolled: 1-line block ×4, first 2 shown]
	v_fma_f16 v35, v12, 0x39e9, -v84
	v_add_f16_e32 v36, v31, v109
	v_add_f16_e32 v23, v23, v26
	;; [unrolled: 1-line block ×3, first 2 shown]
	v_fma_f16 v30, v13, 0xb8d2, -v79
	v_add_f16_e32 v28, v35, v34
	v_add_f16_e32 v34, v31, v93
	v_fma_f16 v35, v10, 0x3722, -v107
	v_add_f16_e32 v26, v29, v26
	v_fma_f16 v29, v15, 0x3722, -v96
	v_add_f16_e32 v28, v30, v28
	v_add_f16_e32 v30, v94, v34
	v_fma_f16 v34, v9, 0xbacd, -v106
	v_add_f16_e32 v36, v110, v36
	v_fma_f16 v47, v10, 0xbacd, -v154
	;; [unrolled: 2-line block ×3, first 2 shown]
	v_add_f16_e32 v30, v83, v30
	v_add_f16_e32 v34, v0, v34
	v_mul_f16_e64 v49, 0xb964, v162
	v_fma_f16 v57, v10, 0xbbdd, -v170
	v_add_f16_e32 v28, v29, v28
	v_add_f16_e32 v29, v85, v30
	;; [unrolled: 1-line block ×3, first 2 shown]
	v_fma_f16 v34, v11, 0x2de8, -v108
	v_fma_f16 v35, v17, 0x2de8, -v90
	v_fma_f16 v191, 0xbacd, v17, v174
	v_fma_f16 v192, 0x39e9, v9, v49
	v_mul_f16_e64 v184, 0xbbf7, v150
	v_add_f16_e32 v30, v34, v30
	v_fma_f16 v34, v12, 0xb8d2, -v117
	v_add_f16_e32 v28, v35, v28
	v_add_f16_e32 v35, v111, v36
	v_fma_f16 v36, v9, 0xb8d2, -v127
	v_fmac_f16_e64 v175, 0xbb29, v1
	v_add_f16_e32 v30, v34, v30
	v_fma_f16 v34, v13, 0x3b76, -v118
	v_add_f16_e32 v35, v100, v35
	v_add_f16_e32 v36, v0, v36
	v_add_f16_e64 v114, v191, v114
	v_add_f16_e64 v191, v0, v192
	v_add_f16_e32 v30, v34, v30
	v_fma_f16 v34, v15, 0xbbdd, -v119
	v_fma_f16 v192, 0x2de8, v10, v184
	v_mul_f16_e64 v167, 0xba62, v157
	v_add_f16_e32 v23, v59, v23
	v_add_f16_e64 v59, v31, v175
	v_add_f16_e32 v30, v34, v30
	v_fma_f16 v34, v16, 0x39e9, -v102
	v_fmac_f16_e64 v176, 0xba62, v8
	v_mul_f16_e64 v201, 0x3b76, v58
	v_add_f16_e64 v192, v192, v191
	v_fma_f16 v193, 0xb8d2, v11, v167
	v_add_f16_e32 v30, v34, v30
	v_add_f16_e32 v34, v101, v35
	;; [unrolled: 1-line block ×3, first 2 shown]
	v_fma_f16 v36, v11, 0x3b76, -v129
	v_fma_f16 v41, v17, 0xb461, -v103
	v_mul_f16_e64 v58, 0xb1e1, v159
	v_add_f16_e64 v59, v176, v59
	v_fmac_f16_e64 v177, 0x31e1, v2
	v_add_f16_e32 v35, v36, v35
	v_fma_f16 v36, v12, 0xbacd, -v138
	v_add_f16_e32 v30, v41, v30
	v_add_f16_e64 v41, v133, v45
	v_fma_f16 v45, v9, 0xb461, -v153
	v_fma_f16 v194, 0x35c8, v1, v201
	v_add_f16_e32 v35, v36, v35
	v_fma_f16 v36, v13, 0x2de8, -v139
	v_add_f16_e32 v41, v115, v41
	v_add_f16_e32 v45, v0, v45
	v_mul_f16_e64 v191, 0x39e9, v99
	v_add_f16_e64 v193, v193, v192
	v_add_f16_e32 v35, v36, v35
	v_fma_f16 v36, v15, 0x39e9, -v121
	v_add_f16_e32 v41, v116, v41
	v_add_f16_e32 v45, v47, v45
	v_fma_f16 v47, v11, 0x39e9, -v158
	v_fma_f16 v204, 0xbbdd, v12, v58
	v_add_f16_e32 v35, v36, v35
	v_fma_f16 v36, v16, 0xbbdd, -v122
	v_mul_f16_e64 v99, 0x3836, v160
	v_add_f16_e64 v59, v177, v59
	v_fmac_f16_e64 v161, 0x3bb2, v6
	v_fmac_f16_e64 v195, 0xb964, v1
	v_add_f16_e32 v35, v36, v35
	v_add_f16_e32 v36, v120, v41
	v_add_f16_e32 v41, v47, v45
	v_fma_f16 v45, v12, 0x3722, -v169
	v_fma_f16 v47, v17, 0x3722, -v123
	v_add_f16_e64 v194, v31, v194
	v_fma_f16 v205, 0x3964, v8, v191
	v_mul_f16_e64 v192, 0x3722, v104
	v_add_f16_e32 v41, v45, v41
	v_fma_f16 v45, v13, 0xbbdd, -v163
	v_add_f16_e32 v35, v47, v35
	v_add_f16_e64 v47, v152, v54
	v_fma_f16 v54, v9, 0x2de8, -v168
	v_add_f16_e64 v204, v204, v193
	v_add_f16_e32 v41, v45, v41
	v_fma_f16 v45, v15, 0x2de8, -v164
	v_add_f16_e64 v47, v136, v47
	v_add_f16_e32 v54, v0, v54
	v_fma_f16 v206, 0xbacd, v13, v99
	v_mul_f16_e64 v104, 0x3bb2, v182
	v_add_f16_e32 v41, v45, v41
	v_fma_f16 v45, v16, 0x3b76, -v148
	v_add_f16_e64 v63, v31, v195
	v_fmac_f16_e64 v196, 0xbbf7, v8
	v_add_f16_e64 v194, v205, v194
	v_fma_f16 v205, 0x3b29, v2, v192
	v_add_f16_e32 v41, v45, v41
	v_add_f16_e64 v45, v137, v47
	v_add_f16_e32 v47, v57, v54
	v_fma_f16 v54, v11, 0xb461, -v171
	v_fma_f16 v57, v17, 0xb8d2, -v149
	v_mul_f16_e64 v193, 0x2de8, v131
	v_add_f16_e64 v204, v206, v204
	v_fma_f16 v206, 0xb461, v15, v104
	v_add_f16_e32 v47, v54, v47
	v_fma_f16 v54, v12, 0x3b76, -v178
	v_add_f16_e32 v41, v57, v41
	v_fma_f16 v57, v9, 0x3722, -v185
	v_mul_f16_e64 v131, 0x3b29, v181
	v_add_f16_e32 v33, v60, v33
	v_add_f16_e32 v47, v54, v47
	v_fma_f16 v54, v13, 0x3722, -v179
	v_add_f16_e32 v57, v0, v57
	v_fma_f16 v60, v16, 0xb8d2, -v144
	v_add_f16_e64 v63, v196, v63
	v_fmac_f16_e64 v197, 0xba62, v2
	v_add_f16_e32 v47, v54, v47
	v_fma_f16 v54, v15, 0xbacd, -v180
	v_add_f16_e64 v205, v205, v194
	v_mul_f16_e64 v194, 0xb461, v142
	v_add_f16_e64 v204, v206, v204
	v_fma_f16 v206, 0x3722, v16, v131
	v_add_f16_e32 v47, v54, v47
	v_add_f16_e64 v54, v161, v59
	v_fma_f16 v59, v10, 0xb8d2, -v172
	v_mul_f16_e64 v142, 0x35c8, v190
	v_fmac_f16_e64 v198, 0xb1e1, v6
	v_add_f16_e32 v47, v60, v47
	v_add_f16_e64 v60, v197, v63
	v_add_f16_e32 v57, v59, v57
	v_fma_f16 v59, v11, 0xbbdd, -v173
	v_add_f16_e64 v204, v206, v204
	v_fma_f16 v206, 0x3b76, v17, v142
	v_mul_f16_e64 v162, 0xb5c8, v162
	v_add_f16_e64 v60, v198, v60
	v_add_f16_e32 v57, v59, v57
	v_fma_f16 v59, v12, 0xb461, -v186
	v_fmac_f16_e64 v199, 0x3836, v7
	v_fma_f16 v207, 0x3bf7, v6, v193
	v_add_f16_e64 v62, v206, v204
	v_fma_f16 v204, 0x3b76, v9, v162
	v_add_f16_e32 v57, v59, v57
	v_fma_f16 v59, v13, 0x39e9, -v187
	v_mul_f16_e64 v150, 0xb964, v150
	v_add_f16_e64 v60, v199, v60
	v_fmac_f16_e64 v200, 0x3bb2, v4
	v_add_f16_e64 v205, v207, v205
	v_add_f16_e32 v57, v59, v57
	v_fma_f16 v59, v15, 0x3b76, -v188
	v_fma_f16 v207, 0x3bb2, v7, v194
	v_mul_f16_e64 v165, 0xb8d2, v165
	v_mul_f16_e32 v50, 0xbacd, v112
	v_add_f16_e64 v67, v0, v204
	v_fma_f16 v112, 0x39e9, v10, v150
	v_mul_f16_e64 v157, 0xbb29, v157
	v_add_f16_e32 v57, v59, v57
	v_fma_f16 v59, v16, 0x2de8, -v189
	v_add_f16_e64 v60, v200, v60
	v_fmac_f16_e64 v183, 0x3b29, v5
	v_fma_f16 v49, v9, 0x39e9, -v49
	v_fmac_f16_e64 v201, 0xb5c8, v1
	v_fmac_f16_e64 v191, 0xb964, v8
	v_fma_f16 v8, v9, 0x3b76, -v162
	v_add_f16_e64 v205, v207, v205
	v_fma_f16 v207, 0x3a62, v4, v165
	v_add_f16_e32 v67, v112, v67
	v_fma_f16 v74, 0x3722, v11, v157
	v_mul_f16_e64 v64, 0xbbf7, v159
	v_add_f16_e32 v57, v59, v57
	v_add_f16_e64 v59, v183, v60
	v_add_f16_e32 v49, v0, v49
	v_fma_f16 v60, v10, 0x2de8, -v184
	v_add_f16_e64 v31, v31, v201
	v_fmac_f16_e64 v192, 0xbb29, v2
	v_add_f16_e32 v0, v0, v8
	v_fma_f16 v2, v10, 0x39e9, -v150
	v_add_f16_e64 v202, v207, v205
	v_fmamk_f16 v61, v5, 0x3836, v50
	v_add_f16_e32 v67, v74, v67
	v_fmamk_f16 v74, v12, 0x2de8, v64
	v_mul_f16_e64 v86, 0xbbb2, v160
	v_mul_f16_e64 v55, 0xbbdd, v166
	v_add_f16_e32 v9, v60, v49
	v_fma_f16 v49, v11, 0xb8d2, -v167
	v_add_f16_e64 v31, v191, v31
	v_add_f16_e32 v0, v2, v0
	v_fma_f16 v2, v11, 0x3722, -v157
	v_add_f16_e64 v61, v61, v202
	v_add_f16_e32 v67, v74, v67
	v_fmamk_f16 v74, v13, 0xb461, v86
	v_mul_f16_e64 v75, 0xba62, v182
	v_fmamk_f16 v87, v3, 0x31e1, v55
	v_add_f16_e32 v8, v49, v9
	v_fma_f16 v9, v12, 0xbbdd, -v58
	v_add_f16_e64 v10, v192, v31
	v_fmac_f16_e64 v193, 0xbbf7, v6
	v_add_f16_e32 v0, v2, v0
	v_fma_f16 v2, v12, 0x2de8, -v64
	v_add_f16_e32 v67, v74, v67
	v_fmamk_f16 v74, v15, 0xb8d2, v75
	v_add_f16_e32 v61, v87, v61
	v_mul_f16_e64 v87, 0xb836, v181
	v_add_f16_e32 v6, v9, v8
	v_fma_f16 v8, v13, 0xbacd, -v99
	v_add_f16_e64 v9, v193, v10
	v_fmac_f16_e64 v194, 0xbbb2, v7
	v_fmac_f16_e32 v73, 0xb5c8, v7
	v_fmac_f16_e32 v124, 0xbb29, v7
	v_fmac_f16_e64 v145, 0x3964, v7
	v_add_f16_e32 v0, v2, v0
	v_fma_f16 v2, v13, 0xb461, -v86
	v_add_f16_e32 v67, v74, v67
	v_fmamk_f16 v72, v16, 0xbacd, v87
	v_mul_f16_e64 v74, 0xb1e1, v190
	v_add_f16_e32 v6, v8, v6
	v_fma_f16 v7, v15, 0xb461, -v104
	v_add_f16_e64 v8, v194, v9
	v_fmac_f16_e64 v165, 0xba62, v4
	v_add_f16_e32 v29, v73, v29
	v_fmac_f16_e32 v76, 0xb1e1, v4
	v_fmac_f16_e32 v92, 0xb964, v4
	;; [unrolled: 1-line block ×3, first 2 shown]
	v_add_f16_e32 v45, v124, v45
	v_fmac_f16_e32 v125, 0xb836, v4
	v_add_f16_e64 v54, v145, v54
	v_fmac_f16_e64 v143, 0xb5c8, v4
	v_add_f16_e32 v0, v2, v0
	v_fma_f16 v2, v15, 0xb8d2, -v75
	v_add_f16_e32 v67, v72, v67
	v_fmamk_f16 v68, v17, 0xbbdd, v74
	v_add_f16_e32 v4, v7, v6
	v_fma_f16 v6, v16, 0x3722, -v131
	v_add_f16_e64 v7, v165, v8
	v_fmac_f16_e32 v50, 0xb836, v5
	v_add_f16_e32 v29, v76, v29
	v_fmac_f16_e32 v80, 0x3964, v5
	v_add_f16_e32 v34, v92, v34
	;; [unrolled: 2-line block ×4, first 2 shown]
	v_fmac_f16_e64 v130, 0x3a62, v5
	v_add_f16_e64 v54, v143, v54
	v_fmac_f16_e64 v146, 0xbbf7, v5
	v_add_f16_e32 v0, v2, v0
	v_fma_f16 v2, v16, 0xbacd, -v87
	v_add_f16_e32 v43, v68, v67
	v_fmac_f16_e32 v71, 0x3bf7, v3
	v_add_f16_e32 v4, v6, v4
	v_fma_f16 v5, v17, 0x3b76, -v142
	v_add_f16_e32 v6, v50, v7
	v_fmac_f16_e32 v55, 0xb1e1, v3
	v_add_f16_e32 v29, v80, v29
	v_fmac_f16_e32 v70, 0xbbb2, v3
	;; [unrolled: 2-line block ×4, first 2 shown]
	v_add_f16_e64 v45, v130, v45
	v_fmac_f16_e64 v140, 0x3964, v3
	v_fma_f16 v63, v17, 0x39e9, -v135
	v_add_f16_e64 v54, v146, v54
	v_fmac_f16_e64 v147, 0xb836, v3
	v_fma_f16 v1, v17, 0xbacd, -v174
	v_fmac_f16_e64 v134, 0x35c8, v3
	v_add_f16_e32 v0, v2, v0
	v_fma_f16 v2, v17, 0xbbdd, -v74
	v_add_f16_e32 v26, v71, v26
	v_add_f16_e32 v4, v5, v4
	;; [unrolled: 1-line block ×3, first 2 shown]
	v_pack_b32_f16 v6, v33, v23
	v_pack_b32_f16 v7, v43, v61
	v_add_f16_e32 v29, v70, v29
	v_add_f16_e32 v34, v82, v34
	v_pack_b32_f16 v8, v62, v56
	v_pack_b32_f16 v9, v114, v91
	v_add_f16_e32 v36, v98, v36
	v_add_f16_e64 v45, v140, v45
	v_add_f16_e32 v47, v63, v47
	v_pack_b32_f16 v10, v65, v32
	v_pack_b32_f16 v11, v27, v25
	v_add_f16_e64 v54, v147, v54
	v_add_f16_e32 v1, v1, v57
	v_add_f16_e64 v3, v134, v59
	v_pack_b32_f16 v12, v22, v21
	v_pack_b32_f16 v13, v20, v19
	v_add_nc_u32_e32 v15, 0x400, v38
	v_add_f16_e32 v0, v2, v0
	ds_store_2addr_b32 v38, v6, v7 offset1:50
	ds_store_2addr_b32 v38, v8, v9 offset0:100 offset1:150
	ds_store_2addr_b32 v38, v10, v11 offset0:200 offset1:250
	;; [unrolled: 1-line block ×3, first 2 shown]
	v_pack_b32_f16 v2, v18, v14
	v_pack_b32_f16 v6, v28, v26
	;; [unrolled: 1-line block ×4, first 2 shown]
	v_add_nc_u32_e32 v9, 0x600, v38
	v_pack_b32_f16 v10, v41, v36
	v_pack_b32_f16 v11, v47, v45
	v_add_nc_u32_e32 v12, 0x800, v38
	v_pack_b32_f16 v1, v1, v54
	v_pack_b32_f16 v3, v4, v3
	;; [unrolled: 1-line block ×3, first 2 shown]
	ds_store_2addr_b32 v15, v2, v6 offset0:144 offset1:194
	ds_store_2addr_b32 v9, v7, v8 offset0:116 offset1:166
	ds_store_2addr_b32 v12, v10, v11 offset0:88 offset1:138
	ds_store_2addr_b32 v12, v1, v3 offset0:188 offset1:238
	ds_store_b32 v38, v0 offset:3200
.LBB0_9:
	s_wait_alu 0xfffe
	s_or_b32 exec_lo, exec_lo, s0
	global_wb scope:SCOPE_SE
	s_wait_dscnt 0x0
	s_barrier_signal -1
	s_barrier_wait -1
	global_inv scope:SCOPE_SE
	ds_load_2addr_b32 v[0:1], v38 offset1:85
	ds_load_2addr_b32 v[2:3], v38 offset0:170 offset1:255
	scratch_load_b32 v19, off, off th:TH_LOAD_LU ; 4-byte Folded Reload
	v_lshrrev_b32_e32 v8, 16, v52
	v_lshrrev_b32_e32 v9, 16, v53
	;; [unrolled: 1-line block ×3, first 2 shown]
	s_mov_b32 s6, 0xace01346
	s_mov_b32 s7, 0x3f534679
	v_mad_co_u64_u32 v[14:15], null, s10, v24, 0
	v_lshrrev_b32_e32 v50, 16, v48
	s_wait_dscnt 0x1
	v_lshrrev_b32_e32 v4, 16, v0
	v_mul_f16_e32 v5, v8, v0
	v_lshrrev_b32_e32 v6, 16, v1
	v_mul_f16_e32 v7, v9, v1
	s_wait_dscnt 0x0
	v_lshrrev_b32_e32 v12, 16, v2
	v_mul_f16_e32 v8, v8, v4
	v_fma_f16 v5, v52, v4, -v5
	v_mul_f16_e32 v9, v9, v6
	v_fma_f16 v4, v53, v6, -v7
	v_mul_f16_e32 v10, v11, v12
	v_fmac_f16_e32 v8, v52, v0
	v_cvt_f32_f16_e32 v5, v5
	v_fmac_f16_e32 v9, v53, v1
	v_cvt_f32_f16_e32 v0, v4
	;; [unrolled: 2-line block ×3, first 2 shown]
	v_cvt_f64_f32_e32 v[4:5], v5
	v_mul_f16_e32 v2, v11, v2
	v_cvt_f64_f32_e32 v[6:7], v0
	v_cvt_f32_f16_e32 v10, v10
	v_cvt_f64_f32_e32 v[0:1], v8
	v_cvt_f32_f16_e32 v8, v9
	v_fma_f16 v2, v51, v12, -v2
	v_lshrrev_b32_e32 v20, 16, v3
	v_cvt_f64_f32_e32 v[10:11], v10
	s_delay_alu instid0(VALU_DEP_4) | instskip(NEXT) | instid1(VALU_DEP_4)
	v_cvt_f64_f32_e32 v[8:9], v8
	v_cvt_f32_f16_e32 v2, v2
	s_delay_alu instid0(VALU_DEP_1)
	v_cvt_f64_f32_e32 v[12:13], v2
	s_wait_alu 0xfffe
	v_mul_f64_e32 v[4:5], s[6:7], v[4:5]
	v_mul_f64_e32 v[6:7], s[6:7], v[6:7]
	;; [unrolled: 1-line block ×6, first 2 shown]
	v_bfe_u32 v21, v5, 20, 11
	v_and_or_b32 v6, 0x1ff, v7, v6
	v_lshrrev_b32_e32 v22, 8, v7
	v_and_or_b32 v0, 0x1ff, v1, v0
	v_bfe_u32 v25, v1, 20, 11
	v_bfe_u32 v23, v7, 20, 11
	v_sub_nc_u32_e32 v26, 0x3f1, v21
	v_and_or_b32 v10, 0x1ff, v11, v10
	v_add_nc_u32_e32 v21, 0xfffffc10, v21
	v_bfe_u32 v28, v9, 20, 11
	v_and_or_b32 v8, 0x1ff, v9, v8
	v_sub_nc_u32_e32 v32, 0x3f1, v25
	v_lshrrev_b32_e32 v27, 8, v9
	v_sub_nc_u32_e32 v29, 0x3f1, v23
	v_add_nc_u32_e32 v23, 0xfffffc10, v23
	v_lshrrev_b32_e32 v30, 8, v11
	v_add_nc_u32_e32 v25, 0xfffffc10, v25
	v_bfe_u32 v31, v11, 20, 11
	v_lshrrev_b32_e32 v7, 16, v7
	s_wait_loadcnt 0x0
	v_mad_co_u64_u32 v[16:17], null, s8, v19, 0
	s_delay_alu instid0(VALU_DEP_1) | instskip(NEXT) | instid1(VALU_DEP_1)
	v_dual_mov_b32 v2, v15 :: v_dual_mov_b32 v15, v17
	v_mad_co_u64_u32 v[17:18], null, s11, v24, v[2:3]
	v_mul_f16_e32 v2, v50, v20
	v_lshrrev_b32_e32 v24, 8, v1
	s_delay_alu instid0(VALU_DEP_4) | instskip(SKIP_1) | instid1(VALU_DEP_4)
	v_mad_co_u64_u32 v[18:19], null, s9, v19, v[15:16]
	v_lshrrev_b32_e32 v1, 16, v1
	v_fmac_f16_e32 v2, v48, v3
	v_mov_b32_e32 v15, v17
	v_mul_f16_e32 v3, v50, v3
	s_delay_alu instid0(VALU_DEP_3) | instskip(SKIP_1) | instid1(VALU_DEP_3)
	v_cvt_f32_f16_e32 v2, v2
	v_mov_b32_e32 v17, v18
	v_fma_f16 v3, v48, v20, -v3
	s_delay_alu instid0(VALU_DEP_3) | instskip(SKIP_4) | instid1(VALU_DEP_4)
	v_cvt_f64_f32_e32 v[18:19], v2
	v_and_or_b32 v2, 0x1ff, v5, v4
	v_lshrrev_b32_e32 v4, 8, v5
	v_lshrrev_b32_e32 v5, 16, v5
	v_cvt_f32_f16_e32 v3, v3
	v_cmp_ne_u32_e32 vcc_lo, 0, v2
	s_wait_alu 0xfffd
	v_cndmask_b32_e64 v2, 0, 1, vcc_lo
	v_cmp_ne_u32_e32 vcc_lo, 0, v6
	s_delay_alu instid0(VALU_DEP_2)
	v_and_or_b32 v2, 0xffe, v4, v2
	s_wait_alu 0xfffd
	v_cndmask_b32_e64 v6, 0, 1, vcc_lo
	v_cmp_ne_u32_e32 vcc_lo, 0, v0
	v_med3_i32 v4, v26, 0, 13
	v_sub_nc_u32_e32 v26, 0x3f1, v28
	v_lshl_or_b32 v33, v21, 12, v2
	v_and_or_b32 v6, 0xffe, v22, v6
	s_wait_alu 0xfffd
	v_cndmask_b32_e64 v0, 0, 1, vcc_lo
	v_cmp_ne_u32_e32 vcc_lo, 0, v8
	v_med3_i32 v22, v29, 0, 13
	v_add_nc_u32_e32 v28, 0xfffffc10, v28
	v_lshl_or_b32 v34, v23, 12, v6
	v_and_or_b32 v0, 0xffe, v24, v0
	s_wait_alu 0xfffd
	v_cndmask_b32_e64 v8, 0, 1, vcc_lo
	v_cmp_ne_u32_e32 vcc_lo, 0, v10
	v_med3_i32 v24, v32, 0, 13
	v_or_b32_e32 v32, 0x1000, v2
	v_lshl_or_b32 v35, v25, 12, v0
	v_and_or_b32 v8, 0xffe, v27, v8
	s_wait_alu 0xfffd
	v_cndmask_b32_e64 v10, 0, 1, vcc_lo
	v_cmp_ne_u32_e32 vcc_lo, 0, v2
	v_or_b32_e32 v27, 0x1000, v6
	v_lshrrev_b32_e32 v36, v4, v32
	v_med3_i32 v26, v26, 0, 13
	v_and_or_b32 v10, 0xffe, v30, v10
	s_wait_alu 0xfffd
	v_cndmask_b32_e64 v2, 0, 1, vcc_lo
	v_cmp_ne_u32_e32 vcc_lo, 0, v6
	v_lshlrev_b32_e32 v4, v4, v36
	v_or_b32_e32 v30, 0x1000, v0
	v_lshrrev_b32_e32 v45, v22, v27
	v_or_b32_e32 v41, 0x1000, v8
	s_wait_alu 0xfffd
	v_cndmask_b32_e64 v6, 0, 1, vcc_lo
	v_cmp_ne_u32_e32 vcc_lo, 0, v0
	v_lshl_or_b32 v43, v28, 12, v8
	v_lshrrev_b32_e32 v47, v24, v30
	v_lshlrev_b32_e32 v22, v22, v45
	v_lshrrev_b32_e32 v49, v26, v41
	s_wait_alu 0xfffd
	v_cndmask_b32_e64 v0, 0, 1, vcc_lo
	v_cmp_ne_u32_e32 vcc_lo, 0, v8
	v_lshlrev_b32_e32 v24, v24, v47
	v_lshl_or_b32 v2, v2, 9, 0x7c00
	v_lshlrev_b32_e32 v26, v26, v49
	v_lshl_or_b32 v0, v0, 9, 0x7c00
	s_wait_alu 0xfffd
	v_cndmask_b32_e64 v8, 0, 1, vcc_lo
	v_cmp_ne_u32_e32 vcc_lo, v4, v32
	v_sub_nc_u32_e32 v29, 0x3f1, v31
	v_lshlrev_b64_e32 v[14:15], 2, v[14:15]
	s_delay_alu instid0(VALU_DEP_4) | instskip(SKIP_3) | instid1(VALU_DEP_2)
	v_lshl_or_b32 v8, v8, 9, 0x7c00
	s_wait_alu 0xfffd
	v_cndmask_b32_e64 v4, 0, 1, vcc_lo
	v_cmp_ne_u32_e32 vcc_lo, v22, v27
	v_or_b32_e32 v4, v36, v4
	s_wait_alu 0xfffd
	v_cndmask_b32_e64 v22, 0, 1, vcc_lo
	v_cmp_ne_u32_e32 vcc_lo, v24, v30
	s_delay_alu instid0(VALU_DEP_2) | instskip(SKIP_3) | instid1(VALU_DEP_2)
	v_or_b32_e32 v22, v45, v22
	s_wait_alu 0xfffd
	v_cndmask_b32_e64 v24, 0, 1, vcc_lo
	v_cmp_ne_u32_e32 vcc_lo, v26, v41
	v_or_b32_e32 v24, v47, v24
	s_wait_alu 0xfffd
	v_cndmask_b32_e64 v26, 0, 1, vcc_lo
	v_cmp_gt_i32_e32 vcc_lo, 1, v21
	s_delay_alu instid0(VALU_DEP_2)
	v_or_b32_e32 v26, v49, v26
	s_wait_alu 0xfffd
	v_cndmask_b32_e32 v4, v33, v4, vcc_lo
	v_cmp_gt_i32_e32 vcc_lo, 1, v23
	s_wait_alu 0xfffd
	v_cndmask_b32_e32 v22, v34, v22, vcc_lo
	v_cmp_gt_i32_e32 vcc_lo, 1, v25
	s_delay_alu instid0(VALU_DEP_2)
	v_and_b32_e32 v30, 7, v22
	s_wait_alu 0xfffd
	v_cndmask_b32_e32 v24, v35, v24, vcc_lo
	v_cmp_gt_i32_e32 vcc_lo, 1, v28
	v_and_b32_e32 v27, 7, v4
	v_lshrrev_b32_e32 v4, 2, v4
	v_cmp_lt_i32_e64 s3, 5, v30
	v_and_b32_e32 v32, 7, v24
	s_wait_alu 0xfffd
	v_cndmask_b32_e32 v26, v43, v26, vcc_lo
	v_lshrrev_b32_e32 v24, 2, v24
	v_cmp_lt_i32_e32 vcc_lo, 5, v27
	v_cmp_eq_u32_e64 s0, 3, v27
	v_cmp_lt_i32_e64 s1, 5, v32
	v_cmp_eq_u32_e64 s2, 3, v32
	v_and_b32_e32 v27, 7, v26
	v_lshrrev_b32_e32 v26, 2, v26
	s_or_b32 vcc_lo, s0, vcc_lo
	v_cmp_gt_i32_e64 s0, 31, v25
	s_or_b32 s1, s2, s1
	s_wait_alu 0xfffe
	v_add_co_ci_u32_e32 v4, vcc_lo, 0, v4, vcc_lo
	v_add_co_ci_u32_e64 v24, s1, 0, v24, s1
	v_cmp_gt_i32_e64 s1, 31, v21
	v_cmp_lt_i32_e32 vcc_lo, 5, v27
	v_cmp_eq_u32_e64 s4, 3, v30
	s_delay_alu instid0(VALU_DEP_4)
	v_cndmask_b32_e64 v24, 0x7c00, v24, s0
	v_cmp_eq_u32_e64 s0, 3, v27
	s_wait_alu 0xf1ff
	v_cndmask_b32_e64 v4, 0x7c00, v4, s1
	v_cmp_eq_u32_e64 s1, 0x40f, v25
	v_lshrrev_b32_e32 v22, 2, v22
	s_or_b32 vcc_lo, s0, vcc_lo
	s_delay_alu instid0(VALU_DEP_2) | instskip(SKIP_3) | instid1(VALU_DEP_3)
	v_cndmask_b32_e64 v0, v24, v0, s1
	s_wait_alu 0xfffe
	v_add_co_ci_u32_e32 v24, vcc_lo, 0, v26, vcc_lo
	v_cmp_eq_u32_e32 vcc_lo, 0x40f, v21
	v_and_or_b32 v0, 0x8000, v1, v0
	s_wait_alu 0xfffd
	v_cndmask_b32_e32 v2, v4, v2, vcc_lo
	s_or_b32 vcc_lo, s4, s3
	s_delay_alu instid0(VALU_DEP_2)
	v_and_b32_e32 v0, 0xffff, v0
	s_wait_alu 0xfffe
	v_add_co_ci_u32_e32 v1, vcc_lo, 0, v22, vcc_lo
	v_cmp_gt_i32_e32 vcc_lo, 31, v28
	v_and_or_b32 v2, 0x8000, v5, v2
	v_med3_i32 v5, v29, 0, 13
	s_mul_u64 s[2:3], s[8:9], 0x154
	s_wait_alu 0xfffd
	v_cndmask_b32_e32 v4, 0x7c00, v24, vcc_lo
	v_cmp_gt_i32_e32 vcc_lo, 31, v23
	v_lshl_or_b32 v21, v2, 16, v0
	v_or_b32_e32 v2, 0x1000, v10
	v_lshl_or_b32 v0, v6, 9, 0x7c00
	v_lshrrev_b32_e32 v6, 16, v9
	s_wait_alu 0xfffd
	v_cndmask_b32_e32 v1, 0x7c00, v1, vcc_lo
	v_cmp_eq_u32_e32 vcc_lo, 0x40f, v28
	v_lshrrev_b32_e32 v9, v5, v2
	v_lshrrev_b32_e32 v24, 16, v42
	s_wait_alu 0xfffd
	v_cndmask_b32_e32 v4, v4, v8, vcc_lo
	v_cmp_eq_u32_e32 vcc_lo, 0x40f, v23
	v_lshlrev_b32_e32 v5, v5, v9
	s_delay_alu instid0(VALU_DEP_3)
	v_and_or_b32 v6, 0x8000, v6, v4
	s_wait_alu 0xfffd
	v_cndmask_b32_e32 v8, v1, v0, vcc_lo
	v_add_co_u32 v14, vcc_lo, s12, v14
	s_wait_alu 0xfffd
	v_add_co_ci_u32_e32 v15, vcc_lo, s13, v15, vcc_lo
	v_and_or_b32 v4, 0x1ff, v13, v12
	v_cmp_ne_u32_e32 vcc_lo, v5, v2
	v_add_nc_u32_e32 v12, 0xfffffc10, v31
	v_lshlrev_b64_e32 v[0:1], 2, v[16:17]
	v_lshrrev_b32_e32 v5, 8, v13
	v_bfe_u32 v16, v13, 20, 11
	s_wait_alu 0xfffd
	v_cndmask_b32_e64 v2, 0, 1, vcc_lo
	v_cmp_ne_u32_e32 vcc_lo, 0, v4
	v_and_or_b32 v8, 0x8000, v7, v8
	v_lshl_or_b32 v7, v12, 12, v10
	v_lshrrev_b32_e32 v13, 16, v13
	v_or_b32_e32 v2, v9, v2
	s_wait_alu 0xfffd
	v_cndmask_b32_e64 v4, 0, 1, vcc_lo
	v_cmp_gt_i32_e32 vcc_lo, 1, v12
	s_delay_alu instid0(VALU_DEP_2)
	v_and_or_b32 v17, 0xffe, v5, v4
	v_sub_nc_u32_e32 v4, 0x3f1, v16
	s_wait_alu 0xfffd
	v_cndmask_b32_e32 v9, v7, v2, vcc_lo
	v_cvt_f64_f32_e32 v[2:3], v3
	v_add_nc_u32_e32 v7, 0x400, v38
	v_or_b32_e32 v20, 0x1000, v17
	v_med3_i32 v22, v4, 0, 13
	v_mul_f64_e32 v[4:5], s[6:7], v[18:19]
	v_and_b32_e32 v19, 7, v9
	v_and_b32_e32 v18, 0xffff, v6
	v_add_co_u32 v0, vcc_lo, v14, v0
	v_lshrrev_b32_e32 v23, v22, v20
	s_wait_alu 0xfffd
	v_add_co_ci_u32_e32 v1, vcc_lo, v15, v1, vcc_lo
	ds_load_2addr_b32 v[6:7], v7 offset0:84 offset1:169
	v_cmp_lt_i32_e32 vcc_lo, 5, v19
	v_cmp_eq_u32_e64 s0, 3, v19
	v_lshl_or_b32 v15, v8, 16, v18
	v_lshrrev_b32_e32 v8, 2, v9
	v_lshlrev_b32_e32 v14, v22, v23
	v_lshrrev_b32_e32 v19, 16, v11
	s_or_b32 vcc_lo, s0, vcc_lo
	s_wait_alu 0xfffe
	v_add_co_ci_u32_e32 v8, vcc_lo, 0, v8, vcc_lo
	v_cmp_ne_u32_e64 s1, v14, v20
	v_cmp_ne_u32_e32 vcc_lo, 0, v10
	v_add_nc_u32_e32 v14, 0xfffffc10, v16
	s_wait_alu 0xf1ff
	s_delay_alu instid0(VALU_DEP_3)
	v_cndmask_b32_e64 v9, 0, 1, s1
	s_wait_alu 0xfffd
	v_cndmask_b32_e64 v10, 0, 1, vcc_lo
	v_cmp_gt_i32_e32 vcc_lo, 31, v12
	v_lshl_or_b32 v16, v14, 12, v17
	s_wait_dscnt 0x0
	v_lshrrev_b32_e32 v18, 16, v6
	v_or_b32_e32 v9, v23, v9
	v_lshrrev_b32_e32 v23, 16, v46
	s_wait_alu 0xfffd
	v_cndmask_b32_e32 v8, 0x7c00, v8, vcc_lo
	v_cmp_gt_i32_e32 vcc_lo, 1, v14
	v_lshl_or_b32 v10, v10, 9, 0x7c00
	v_mul_f64_e32 v[2:3], s[6:7], v[2:3]
	s_wait_alu 0xfffd
	v_cndmask_b32_e32 v9, v16, v9, vcc_lo
	v_cmp_eq_u32_e32 vcc_lo, 0x40f, v12
	v_mul_f16_e32 v16, v23, v18
	v_and_or_b32 v4, 0x1ff, v5, v4
	v_lshrrev_b32_e32 v11, 8, v5
	s_wait_alu 0xfffd
	v_cndmask_b32_e32 v12, v8, v10, vcc_lo
	v_and_b32_e32 v8, 7, v9
	v_fmac_f16_e32 v16, v46, v6
	v_lshrrev_b32_e32 v10, 2, v9
	v_cmp_ne_u32_e64 s1, 0, v4
	v_mul_f16_e32 v6, v23, v6
	v_cmp_lt_i32_e32 vcc_lo, 5, v8
	v_cmp_eq_u32_e64 s0, 3, v8
	v_cvt_f32_f16_e32 v8, v16
	s_wait_alu 0xf1ff
	v_cndmask_b32_e64 v4, 0, 1, s1
	v_bfe_u32 v16, v5, 20, 11
	v_fma_f16 v6, v46, v18, -v6
	s_or_b32 vcc_lo, s0, vcc_lo
	v_cvt_f64_f32_e32 v[8:9], v8
	s_wait_alu 0xfffe
	v_add_co_ci_u32_e32 v10, vcc_lo, 0, v10, vcc_lo
	v_cmp_ne_u32_e32 vcc_lo, 0, v17
	v_and_or_b32 v4, 0xffe, v11, v4
	v_sub_nc_u32_e32 v11, 0x3f1, v16
	v_cvt_f32_f16_e32 v6, v6
	v_and_or_b32 v19, 0x8000, v19, v12
	s_wait_alu 0xfffd
	v_cndmask_b32_e64 v17, 0, 1, vcc_lo
	v_cmp_gt_i32_e32 vcc_lo, 31, v14
	v_or_b32_e32 v20, 0x1000, v4
	v_med3_i32 v22, v11, 0, 13
	v_add_nc_u32_e32 v16, 0xfffffc10, v16
	v_lshl_or_b32 v17, v17, 9, 0x7c00
	s_wait_alu 0xfffd
	v_cndmask_b32_e32 v10, 0x7c00, v10, vcc_lo
	v_cmp_eq_u32_e32 vcc_lo, 0x40f, v14
	v_and_or_b32 v2, 0x1ff, v3, v2
	s_wait_alu 0xfffd
	s_delay_alu instid0(VALU_DEP_3) | instskip(SKIP_4) | instid1(VALU_DEP_3)
	v_dual_cndmask_b32 v14, v10, v17 :: v_dual_and_b32 v19, 0xffff, v19
	v_lshrrev_b32_e32 v17, v22, v20
	v_add_co_u32 v10, vcc_lo, v0, s2
	s_wait_alu 0xfffd
	v_add_co_ci_u32_e32 v11, vcc_lo, s3, v1, vcc_lo
	v_lshlrev_b32_e32 v18, v22, v17
	v_and_or_b32 v14, 0x8000, v13, v14
	v_cvt_f64_f32_e32 v[12:13], v6
	s_clause 0x1
	global_store_b32 v[0:1], v21, off
	global_store_b32 v[10:11], v15, off
	v_lshrrev_b32_e32 v22, 16, v44
	v_cmp_ne_u32_e32 vcc_lo, v18, v20
	v_lshrrev_b32_e32 v18, 8, v3
	v_bfe_u32 v20, v3, 20, 11
	v_lshl_or_b32 v14, v14, 16, v19
	v_lshrrev_b32_e32 v21, 16, v5
	s_wait_alu 0xfffd
	v_cndmask_b32_e64 v6, 0, 1, vcc_lo
	v_cmp_ne_u32_e32 vcc_lo, 0, v2
	v_mul_f64_e32 v[8:9], s[6:7], v[8:9]
	s_delay_alu instid0(VALU_DEP_3) | instskip(SKIP_4) | instid1(VALU_DEP_3)
	v_or_b32_e32 v6, v17, v6
	s_wait_alu 0xfffd
	v_cndmask_b32_e64 v2, 0, 1, vcc_lo
	v_lshl_or_b32 v17, v16, 12, v4
	v_cmp_gt_i32_e32 vcc_lo, 1, v16
	v_and_or_b32 v2, 0xffe, v18, v2
	v_sub_nc_u32_e32 v18, 0x3f1, v20
	s_wait_alu 0xfffd
	v_cndmask_b32_e32 v6, v17, v6, vcc_lo
	v_add_co_u32 v0, vcc_lo, v10, s2
	v_or_b32_e32 v17, 0x1000, v2
	v_med3_i32 v18, v18, 0, 13
	s_delay_alu instid0(VALU_DEP_4)
	v_and_b32_e32 v15, 7, v6
	s_wait_alu 0xfffd
	v_add_co_ci_u32_e32 v1, vcc_lo, s3, v11, vcc_lo
	v_lshrrev_b32_e32 v6, 2, v6
	v_lshrrev_b32_e32 v19, v18, v17
	v_cmp_lt_i32_e32 vcc_lo, 5, v15
	v_cmp_eq_u32_e64 s0, 3, v15
	v_lshrrev_b32_e32 v15, 16, v7
	global_store_b32 v[0:1], v14, off
	v_lshlrev_b32_e32 v10, v18, v19
	v_add_nc_u32_e32 v18, 0xfffffc10, v20
	s_or_b32 vcc_lo, s0, vcc_lo
	v_mul_f16_e32 v20, v22, v15
	s_wait_alu 0xfffe
	v_add_co_ci_u32_e32 v6, vcc_lo, 0, v6, vcc_lo
	v_cmp_ne_u32_e64 s1, v10, v17
	v_cmp_ne_u32_e32 vcc_lo, 0, v4
	v_mul_f64_e32 v[10:11], s[6:7], v[12:13]
	v_lshl_or_b32 v13, v18, 12, v2
	v_fmac_f16_e32 v20, v44, v7
	s_wait_alu 0xf1ff
	v_cndmask_b32_e64 v17, 0, 1, s1
	s_wait_alu 0xfffd
	v_cndmask_b32_e64 v4, 0, 1, vcc_lo
	v_cmp_gt_i32_e32 vcc_lo, 1, v18
	v_and_or_b32 v8, 0x1ff, v9, v8
	v_or_b32_e32 v12, v19, v17
	s_delay_alu instid0(VALU_DEP_4) | instskip(SKIP_1) | instid1(VALU_DEP_2)
	v_lshl_or_b32 v4, v4, 9, 0x7c00
	s_wait_alu 0xfffd
	v_cndmask_b32_e32 v17, v13, v12, vcc_lo
	v_cmp_gt_i32_e32 vcc_lo, 31, v16
	v_cvt_f32_f16_e32 v12, v20
	v_lshrrev_b32_e32 v20, 8, v9
	s_wait_alu 0xfffd
	v_dual_cndmask_b32 v6, 0x7c00, v6 :: v_dual_and_b32 v19, 7, v17
	v_cmp_ne_u32_e32 vcc_lo, 0, v8
	v_cvt_f64_f32_e32 v[12:13], v12
	s_delay_alu instid0(VALU_DEP_3) | instskip(SKIP_3) | instid1(VALU_DEP_2)
	v_cmp_eq_u32_e64 s0, 3, v19
	s_wait_alu 0xfffd
	v_cndmask_b32_e64 v8, 0, 1, vcc_lo
	v_cmp_eq_u32_e32 vcc_lo, 0x40f, v16
	v_and_or_b32 v8, 0xffe, v20, v8
	s_wait_alu 0xfffd
	v_cndmask_b32_e32 v16, v6, v4, vcc_lo
	v_bfe_u32 v6, v9, 20, 11
	v_cmp_lt_i32_e32 vcc_lo, 5, v19
	v_mul_f16_e32 v4, v22, v7
	v_lshrrev_b32_e32 v7, 2, v17
	v_or_b32_e32 v17, 0x1000, v8
	v_sub_nc_u32_e32 v5, 0x3f1, v6
	s_or_b32 vcc_lo, s0, vcc_lo
	v_fma_f16 v4, v44, v15, -v4
	s_wait_alu 0xfffe
	v_add_co_ci_u32_e32 v7, vcc_lo, 0, v7, vcc_lo
	v_med3_i32 v15, v5, 0, 13
	v_cmp_ne_u32_e32 vcc_lo, 0, v2
	v_and_or_b32 v10, 0x1ff, v11, v10
	v_cvt_f32_f16_e32 v4, v4
	v_bfe_u32 v23, v11, 20, 11
	v_lshrrev_b32_e32 v19, v15, v17
	s_wait_alu 0xfffd
	v_cndmask_b32_e64 v2, 0, 1, vcc_lo
	v_cmp_gt_i32_e32 vcc_lo, 31, v18
	v_cvt_f64_f32_e32 v[4:5], v4
	v_add_nc_u32_e32 v22, 0xfffffc10, v6
	v_and_or_b32 v16, 0x8000, v21, v16
	v_lshl_or_b32 v2, v2, 9, 0x7c00
	s_wait_alu 0xfffd
	v_cndmask_b32_e32 v20, 0x7c00, v7, vcc_lo
	v_lshlrev_b32_e32 v7, v15, v19
	v_cmp_ne_u32_e32 vcc_lo, 0, v10
	v_lshrrev_b32_e32 v15, 8, v11
	v_lshrrev_b32_e32 v9, 16, v9
	;; [unrolled: 1-line block ×3, first 2 shown]
	s_wait_alu 0xfffd
	v_cndmask_b32_e64 v10, 0, 1, vcc_lo
	v_cmp_ne_u32_e32 vcc_lo, v7, v17
	v_mul_f64_e32 v[6:7], s[6:7], v[12:13]
	s_delay_alu instid0(VALU_DEP_3)
	v_and_or_b32 v10, 0xffe, v15, v10
	s_wait_alu 0xfffd
	v_cndmask_b32_e64 v17, 0, 1, vcc_lo
	v_cmp_eq_u32_e32 vcc_lo, 0x40f, v18
	v_lshl_or_b32 v15, v22, 12, v8
	v_add_nc_u32_e32 v18, 0x600, v38
	s_delay_alu instid0(VALU_DEP_4)
	v_or_b32_e32 v13, v19, v17
	s_wait_alu 0xfffd
	v_cndmask_b32_e32 v12, v20, v2, vcc_lo
	v_sub_nc_u32_e32 v2, 0x3f1, v23
	v_cmp_gt_i32_e32 vcc_lo, 1, v22
	v_or_b32_e32 v17, 0x1000, v10
	s_delay_alu instid0(VALU_DEP_3)
	v_med3_i32 v19, v2, 0, 13
	s_wait_alu 0xfffd
	v_cndmask_b32_e32 v13, v15, v13, vcc_lo
	v_lshrrev_b32_e32 v15, 16, v3
	ds_load_2addr_b32 v[2:3], v18 offset0:126 offset1:211
	v_lshrrev_b32_e32 v18, v19, v17
	v_and_b32_e32 v20, 7, v13
	v_and_or_b32 v14, 0x8000, v15, v12
	v_lshrrev_b32_e32 v13, 2, v13
	v_and_b32_e32 v15, 0xffff, v16
	v_lshlrev_b32_e32 v12, v19, v18
	v_cmp_lt_i32_e32 vcc_lo, 5, v20
	v_cmp_eq_u32_e64 s0, 3, v20
	v_add_nc_u32_e32 v16, 0xfffffc10, v23
	v_mul_f64_e32 v[4:5], s[6:7], v[4:5]
	v_cmp_ne_u32_e64 s1, v12, v17
	v_lshl_or_b32 v14, v14, 16, v15
	s_or_b32 vcc_lo, s0, vcc_lo
	v_lshl_or_b32 v17, v16, 12, v10
	s_wait_alu 0xfffe
	v_add_co_ci_u32_e32 v13, vcc_lo, 0, v13, vcc_lo
	v_cndmask_b32_e64 v12, 0, 1, s1
	v_cmp_ne_u32_e32 vcc_lo, 0, v8
	v_and_or_b32 v6, 0x1ff, v7, v6
	v_lshrrev_b32_e32 v20, 8, v7
	v_bfe_u32 v21, v7, 20, 11
	v_or_b32_e32 v12, v18, v12
	s_wait_dscnt 0x0
	v_lshrrev_b32_e32 v18, 16, v2
	s_wait_alu 0xfffd
	v_cndmask_b32_e64 v8, 0, 1, vcc_lo
	v_cmp_gt_i32_e32 vcc_lo, 1, v16
	s_delay_alu instid0(VALU_DEP_2) | instskip(SKIP_4) | instid1(VALU_DEP_3)
	v_lshl_or_b32 v8, v8, 9, 0x7c00
	s_wait_alu 0xfffd
	v_cndmask_b32_e32 v17, v17, v12, vcc_lo
	v_mul_f16_e32 v12, v24, v18
	v_cmp_gt_i32_e32 vcc_lo, 31, v22
	v_and_b32_e32 v19, 7, v17
	s_delay_alu instid0(VALU_DEP_3)
	v_fmac_f16_e32 v12, v42, v2
	s_wait_alu 0xfffd
	v_cndmask_b32_e32 v13, 0x7c00, v13, vcc_lo
	v_cmp_ne_u32_e32 vcc_lo, 0, v6
	v_lshrrev_b32_e32 v17, 2, v17
	v_cmp_eq_u32_e64 s0, 3, v19
	v_cvt_f32_f16_e32 v12, v12
	v_mul_f16_e32 v2, v24, v2
	s_wait_alu 0xfffd
	v_cndmask_b32_e64 v6, 0, 1, vcc_lo
	v_cmp_eq_u32_e32 vcc_lo, 0x40f, v22
	s_delay_alu instid0(VALU_DEP_3) | instskip(NEXT) | instid1(VALU_DEP_3)
	v_fma_f16 v2, v42, v18, -v2
	v_and_or_b32 v6, 0xffe, v20, v6
	s_wait_alu 0xfffd
	v_cndmask_b32_e32 v8, v13, v8, vcc_lo
	v_cvt_f64_f32_e32 v[12:13], v12
	v_cmp_lt_i32_e32 vcc_lo, 5, v19
	v_sub_nc_u32_e32 v20, 0x3f1, v21
	v_or_b32_e32 v19, 0x1000, v6
	v_and_or_b32 v4, 0x1ff, v5, v4
	v_and_or_b32 v23, 0x8000, v9, v8
	s_or_b32 vcc_lo, s0, vcc_lo
	v_med3_i32 v20, v20, 0, 13
	s_wait_alu 0xfffe
	v_add_co_ci_u32_e32 v17, vcc_lo, 0, v17, vcc_lo
	v_cmp_gt_i32_e32 vcc_lo, 31, v16
	v_lshrrev_b32_e32 v9, 8, v5
	v_lshrrev_b32_e32 v22, v20, v19
	v_cvt_f32_f16_e32 v2, v2
	v_add_nc_u32_e32 v18, 0xfffffc10, v21
	s_wait_alu 0xfffd
	v_cndmask_b32_e32 v17, 0x7c00, v17, vcc_lo
	v_cmp_ne_u32_e32 vcc_lo, 0, v4
	v_lshlrev_b32_e32 v8, v20, v22
	v_bfe_u32 v20, v5, 20, 11
	s_wait_alu 0xfffd
	v_cndmask_b32_e64 v4, 0, 1, vcc_lo
	v_cmp_ne_u32_e32 vcc_lo, 0, v10
	s_delay_alu instid0(VALU_DEP_2)
	v_and_or_b32 v4, 0xffe, v9, v4
	s_wait_alu 0xfffd
	v_cndmask_b32_e64 v10, 0, 1, vcc_lo
	v_cmp_ne_u32_e32 vcc_lo, v8, v19
	v_sub_nc_u32_e32 v9, 0x3f1, v20
	v_or_b32_e32 v19, 0x1000, v4
	s_delay_alu instid0(VALU_DEP_4)
	v_lshl_or_b32 v10, v10, 9, 0x7c00
	s_wait_alu 0xfffd
	v_cndmask_b32_e64 v8, 0, 1, vcc_lo
	v_med3_i32 v21, v9, 0, 13
	v_cmp_eq_u32_e32 vcc_lo, 0x40f, v16
	v_mul_f64_e32 v[12:13], s[6:7], v[12:13]
	s_delay_alu instid0(VALU_DEP_4)
	v_or_b32_e32 v22, v22, v8
	v_cvt_f64_f32_e32 v[8:9], v2
	v_lshrrev_b32_e32 v24, v21, v19
	v_lshl_or_b32 v2, v18, 12, v6
	s_wait_alu 0xfffd
	v_cndmask_b32_e32 v10, v17, v10, vcc_lo
	v_cmp_gt_i32_e32 vcc_lo, 1, v18
	v_add_nc_u32_e32 v17, 0xfffffc10, v20
	v_lshlrev_b32_e32 v16, v21, v24
	s_delay_alu instid0(VALU_DEP_4) | instskip(SKIP_2) | instid1(VALU_DEP_3)
	v_and_or_b32 v10, 0x8000, v11, v10
	s_wait_alu 0xfffd
	v_dual_cndmask_b32 v2, v2, v22 :: v_dual_and_b32 v11, 0xffff, v23
	v_cmp_ne_u32_e32 vcc_lo, v16, v19
	v_cmp_gt_i32_e64 s1, 1, v17
	s_delay_alu instid0(VALU_DEP_3) | instskip(NEXT) | instid1(VALU_DEP_4)
	v_and_b32_e32 v15, 7, v2
	v_lshl_or_b32 v19, v10, 16, v11
	s_wait_alu 0xfffd
	v_cndmask_b32_e64 v16, 0, 1, vcc_lo
	v_add_co_u32 v0, vcc_lo, v0, s2
	s_wait_alu 0xfffd
	v_add_co_ci_u32_e32 v1, vcc_lo, s3, v1, vcc_lo
	s_delay_alu instid0(VALU_DEP_3)
	v_or_b32_e32 v10, v24, v16
	v_lshl_or_b32 v11, v17, 12, v4
	v_lshrrev_b32_e32 v16, 16, v3
	v_lshrrev_b32_e32 v24, 16, v40
	v_cmp_lt_i32_e32 vcc_lo, 5, v15
	v_cmp_eq_u32_e64 s0, 3, v15
	v_lshrrev_b32_e32 v2, 2, v2
	s_wait_alu 0xf1ff
	v_cndmask_b32_e64 v15, v11, v10, s1
	v_mul_f16_e32 v10, v24, v16
	s_or_b32 vcc_lo, s0, vcc_lo
	s_wait_alu 0xfffe
	v_add_co_ci_u32_e32 v2, vcc_lo, 0, v2, vcc_lo
	v_cmp_ne_u32_e32 vcc_lo, 0, v6
	v_and_or_b32 v12, 0x1ff, v13, v12
	v_fmac_f16_e32 v10, v40, v3
	v_mul_f64_e32 v[8:9], s[6:7], v[8:9]
	v_and_b32_e32 v11, 7, v15
	s_wait_alu 0xfffd
	v_cndmask_b32_e64 v6, 0, 1, vcc_lo
	v_cmp_gt_i32_e32 vcc_lo, 31, v18
	v_cmp_ne_u32_e64 s1, 0, v12
	v_cvt_f32_f16_e32 v10, v10
	v_cmp_eq_u32_e64 s0, 3, v11
	v_lshl_or_b32 v6, v6, 9, 0x7c00
	s_wait_alu 0xfffd
	v_cndmask_b32_e32 v2, 0x7c00, v2, vcc_lo
	s_wait_alu 0xf1ff
	v_cndmask_b32_e64 v12, 0, 1, s1
	v_cmp_eq_u32_e64 s1, 0x40f, v18
	v_cmp_lt_i32_e32 vcc_lo, 5, v11
	v_cvt_f64_f32_e32 v[10:11], v10
	v_lshrrev_b32_e32 v20, 8, v13
	v_bfe_u32 v21, v13, 20, 11
	s_wait_alu 0xf1ff
	v_cndmask_b32_e64 v2, v2, v6, s1
	v_lshrrev_b32_e32 v6, 2, v15
	s_or_b32 vcc_lo, s0, vcc_lo
	v_and_or_b32 v12, 0xffe, v20, v12
	v_sub_nc_u32_e32 v15, 0x3f1, v21
	v_lshrrev_b32_e32 v20, 16, v7
	s_wait_alu 0xfffe
	v_add_co_ci_u32_e32 v6, vcc_lo, 0, v6, vcc_lo
	v_cmp_ne_u32_e32 vcc_lo, 0, v4
	v_or_b32_e32 v18, 0x1000, v12
	v_med3_i32 v15, v15, 0, 13
	v_and_or_b32 v20, 0x8000, v20, v2
	v_lshrrev_b32_e32 v13, 16, v13
	s_wait_alu 0xfffd
	v_cndmask_b32_e64 v4, 0, 1, vcc_lo
	v_cmp_gt_i32_e32 vcc_lo, 31, v17
	v_lshrrev_b32_e32 v23, v15, v18
	s_delay_alu instid0(VALU_DEP_3)
	v_lshl_or_b32 v4, v4, 9, 0x7c00
	s_wait_alu 0xfffd
	v_cndmask_b32_e32 v22, 0x7c00, v6, vcc_lo
	v_add_co_u32 v6, vcc_lo, v0, s2
	s_wait_alu 0xfffd
	v_add_co_ci_u32_e32 v7, vcc_lo, s3, v1, vcc_lo
	v_lshlrev_b32_e32 v2, v15, v23
	v_cmp_eq_u32_e32 vcc_lo, 0x40f, v17
	s_wait_alu 0xfffd
	v_cndmask_b32_e32 v15, v22, v4, vcc_lo
	v_and_or_b32 v4, 0x1ff, v9, v8
	v_cmp_ne_u32_e32 vcc_lo, v2, v18
	v_lshrrev_b32_e32 v8, 16, v5
	v_mul_f16_e32 v5, v24, v3
	v_lshrrev_b32_e32 v18, 8, v9
	v_bfe_u32 v22, v9, 20, 11
	s_wait_alu 0xfffd
	v_cndmask_b32_e64 v17, 0, 1, vcc_lo
	v_cmp_ne_u32_e32 vcc_lo, 0, v4
	v_mul_f64_e32 v[2:3], s[6:7], v[10:11]
	v_fma_f16 v5, v40, v16, -v5
	v_add_nc_u32_e32 v10, 0x800, v38
	v_add_nc_u32_e32 v16, 0xfffffc10, v21
	s_wait_alu 0xfffd
	v_cndmask_b32_e64 v4, 0, 1, vcc_lo
	v_sub_nc_u32_e32 v21, 0x3f1, v22
	v_cvt_f32_f16_e32 v11, v5
	v_or_b32_e32 v17, v23, v17
	v_lshl_or_b32 v23, v16, 12, v12
	v_and_or_b32 v18, 0xffe, v18, v4
	ds_load_2addr_b32 v[4:5], v10 offset0:168 offset1:253
	v_cvt_f64_f32_e32 v[10:11], v11
	v_med3_i32 v21, v21, 0, 13
	v_and_or_b32 v8, 0x8000, v8, v15
	v_or_b32_e32 v24, 0x1000, v18
	v_and_b32_e32 v15, 0xffff, v20
	v_cmp_gt_i32_e32 vcc_lo, 1, v16
	s_clause 0x1
	global_store_b32 v[0:1], v14, off
	global_store_b32 v[6:7], v19, off
	v_cmp_eq_u32_e64 s1, 0x40f, v16
	v_lshrrev_b32_e32 v20, v21, v24
	v_lshl_or_b32 v14, v8, 16, v15
	s_wait_alu 0xfffd
	v_cndmask_b32_e32 v17, v23, v17, vcc_lo
	v_add_co_u32 v0, vcc_lo, v6, s2
	v_lshlrev_b32_e32 v15, v21, v20
	s_wait_alu 0xfffd
	v_add_co_ci_u32_e32 v1, vcc_lo, s3, v7, vcc_lo
	v_and_b32_e32 v8, 7, v17
	v_lshrrev_b32_e32 v9, 16, v9
	v_cmp_ne_u32_e64 s0, v15, v24
	s_wait_dscnt 0x0
	v_lshrrev_b32_e32 v19, 16, v4
	v_lshrrev_b32_e32 v24, 16, v39
	v_cmp_lt_i32_e32 vcc_lo, 5, v8
	v_add_nc_u32_e32 v15, 0xfffffc10, v22
	s_wait_alu 0xf1ff
	v_cndmask_b32_e64 v6, 0, 1, s0
	v_cmp_eq_u32_e64 s0, 3, v8
	v_mul_f16_e32 v7, v24, v19
	v_lshrrev_b32_e32 v8, 2, v17
	v_lshl_or_b32 v17, v15, 12, v18
	v_or_b32_e32 v6, v20, v6
	s_or_b32 vcc_lo, s0, vcc_lo
	v_fmac_f16_e32 v7, v39, v4
	s_wait_alu 0xfffe
	v_add_co_ci_u32_e32 v8, vcc_lo, 0, v8, vcc_lo
	v_and_or_b32 v2, 0x1ff, v3, v2
	v_cmp_gt_i32_e32 vcc_lo, 1, v15
	v_cvt_f32_f16_e32 v7, v7
	v_lshrrev_b32_e32 v20, 8, v3
	v_bfe_u32 v21, v3, 20, 11
	v_mul_f64_e32 v[10:11], s[6:7], v[10:11]
	s_wait_alu 0xfffd
	v_cndmask_b32_e32 v17, v17, v6, vcc_lo
	v_cmp_ne_u32_e32 vcc_lo, 0, v2
	v_cvt_f64_f32_e32 v[6:7], v7
	v_mul_f16_e32 v4, v24, v4
	s_delay_alu instid0(VALU_DEP_4)
	v_and_b32_e32 v22, 7, v17
	s_wait_alu 0xfffd
	v_cndmask_b32_e64 v2, 0, 1, vcc_lo
	v_cmp_ne_u32_e32 vcc_lo, 0, v12
	v_lshrrev_b32_e32 v17, 2, v17
	v_fma_f16 v4, v39, v19, -v4
	v_cmp_eq_u32_e64 s0, 3, v22
	v_and_or_b32 v2, 0xffe, v20, v2
	s_wait_alu 0xfffd
	v_cndmask_b32_e64 v12, 0, 1, vcc_lo
	v_cmp_gt_i32_e32 vcc_lo, 31, v16
	v_sub_nc_u32_e32 v20, 0x3f1, v21
	v_cvt_f32_f16_e32 v4, v4
	v_or_b32_e32 v23, 0x1000, v2
	v_lshl_or_b32 v12, v12, 9, 0x7c00
	s_wait_alu 0xfffd
	v_cndmask_b32_e32 v8, 0x7c00, v8, vcc_lo
	v_cmp_lt_i32_e32 vcc_lo, 5, v22
	v_med3_i32 v20, v20, 0, 13
	v_lshrrev_b32_e32 v22, 16, v37
	s_delay_alu instid0(VALU_DEP_4) | instskip(SKIP_1) | instid1(VALU_DEP_3)
	v_cndmask_b32_e64 v8, v8, v12, s1
	s_or_b32 vcc_lo, s0, vcc_lo
	v_lshrrev_b32_e32 v12, v20, v23
	s_wait_alu 0xfffe
	v_add_co_ci_u32_e32 v16, vcc_lo, 0, v17, vcc_lo
	v_cmp_ne_u32_e32 vcc_lo, 0, v18
	v_and_or_b32 v13, 0x8000, v13, v8
	v_lshlrev_b32_e32 v18, v20, v12
	v_add_nc_u32_e32 v20, 0xfffffc10, v21
	s_wait_alu 0xfffd
	v_cndmask_b32_e64 v17, 0, 1, vcc_lo
	v_cmp_gt_i32_e32 vcc_lo, 31, v15
	v_and_b32_e32 v13, 0xffff, v13
	v_and_or_b32 v10, 0x1ff, v11, v10
	s_delay_alu instid0(VALU_DEP_4)
	v_lshl_or_b32 v17, v17, 9, 0x7c00
	s_wait_alu 0xfffd
	v_cndmask_b32_e32 v16, 0x7c00, v16, vcc_lo
	v_cmp_ne_u32_e32 vcc_lo, v18, v23
	v_mul_f64_e32 v[6:7], s[6:7], v[6:7]
	s_wait_alu 0xfffd
	v_cndmask_b32_e64 v18, 0, 1, vcc_lo
	v_cmp_eq_u32_e32 vcc_lo, 0x40f, v15
	v_lshl_or_b32 v15, v20, 12, v2
	s_delay_alu instid0(VALU_DEP_3) | instskip(SKIP_4) | instid1(VALU_DEP_3)
	v_or_b32_e32 v12, v12, v18
	s_wait_alu 0xfffd
	v_cndmask_b32_e32 v8, v16, v17, vcc_lo
	v_cmp_gt_i32_e32 vcc_lo, 1, v20
	v_bfe_u32 v16, v11, 20, 11
	v_and_or_b32 v17, 0x8000, v9, v8
	s_wait_alu 0xfffd
	v_cndmask_b32_e32 v12, v15, v12, vcc_lo
	v_cmp_ne_u32_e32 vcc_lo, 0, v10
	v_lshrrev_b32_e32 v15, 8, v11
	v_cvt_f64_f32_e32 v[8:9], v4
	v_sub_nc_u32_e32 v4, 0x3f1, v16
	v_and_b32_e32 v18, 7, v12
	s_wait_alu 0xfffd
	v_cndmask_b32_e64 v10, 0, 1, vcc_lo
	v_lshrrev_b32_e32 v12, 2, v12
	v_lshl_or_b32 v17, v17, 16, v13
	v_med3_i32 v4, v4, 0, 13
	v_cmp_lt_i32_e32 vcc_lo, 5, v18
	v_and_or_b32 v10, 0xffe, v15, v10
	v_lshrrev_b32_e32 v15, 16, v5
	v_cmp_eq_u32_e64 s0, 3, v18
	v_add_nc_u32_e32 v16, 0xfffffc10, v16
	v_lshrrev_b32_e32 v11, 16, v11
	v_or_b32_e32 v19, 0x1000, v10
	v_mul_f16_e32 v21, v22, v15
	s_or_b32 vcc_lo, s0, vcc_lo
	v_lshl_or_b32 v23, v16, 12, v10
	s_wait_alu 0xfffe
	v_add_co_ci_u32_e32 v12, vcc_lo, 0, v12, vcc_lo
	v_lshrrev_b32_e32 v18, v4, v19
	v_cmp_ne_u32_e32 vcc_lo, 0, v2
	v_fmac_f16_e32 v21, v37, v5
	v_and_or_b32 v6, 0x1ff, v7, v6
	v_mul_f16_e32 v5, v22, v5
	v_lshlrev_b32_e32 v4, v4, v18
	s_wait_alu 0xfffd
	v_cndmask_b32_e64 v2, 0, 1, vcc_lo
	v_cmp_gt_i32_e32 vcc_lo, 31, v20
	v_cvt_f32_f16_e32 v13, v21
	v_bfe_u32 v22, v7, 20, 11
	v_fma_f16 v15, v37, v15, -v5
	v_lshl_or_b32 v2, v2, 9, 0x7c00
	s_wait_alu 0xfffd
	v_cndmask_b32_e32 v21, 0x7c00, v12, vcc_lo
	v_cmp_ne_u32_e32 vcc_lo, v4, v19
	v_cvt_f64_f32_e32 v[12:13], v13
	v_lshrrev_b32_e32 v19, 8, v7
	v_lshrrev_b32_e32 v7, 16, v7
	s_wait_alu 0xfffd
	v_cndmask_b32_e64 v4, 0, 1, vcc_lo
	v_cmp_ne_u32_e32 vcc_lo, 0, v6
	s_delay_alu instid0(VALU_DEP_2)
	v_or_b32_e32 v18, v18, v4
	s_wait_alu 0xfffd
	v_cndmask_b32_e64 v6, 0, 1, vcc_lo
	v_cmp_gt_i32_e32 vcc_lo, 1, v16
	v_mul_f64_e32 v[4:5], s[6:7], v[8:9]
	v_sub_nc_u32_e32 v8, 0x3f1, v22
	v_cvt_f32_f16_e32 v9, v15
	v_and_or_b32 v6, 0xffe, v19, v6
	s_wait_alu 0xfffd
	v_cndmask_b32_e32 v15, v23, v18, vcc_lo
	v_cmp_eq_u32_e32 vcc_lo, 0x40f, v20
	v_med3_i32 v19, v8, 0, 13
	v_cvt_f64_f32_e32 v[8:9], v9
	v_or_b32_e32 v18, 0x1000, v6
	s_wait_alu 0xfffd
	v_dual_cndmask_b32 v20, v21, v2 :: v_dual_and_b32 v23, 7, v15
	v_add_co_u32 v2, vcc_lo, v0, s2
	s_delay_alu instid0(VALU_DEP_3)
	v_lshrrev_b32_e32 v24, v19, v18
	v_lshrrev_b32_e32 v21, 16, v3
	s_wait_alu 0xfffd
	v_add_co_ci_u32_e32 v3, vcc_lo, s3, v1, vcc_lo
	v_cmp_lt_i32_e32 vcc_lo, 5, v23
	v_cmp_eq_u32_e64 s0, 3, v23
	v_lshrrev_b32_e32 v15, 2, v15
	v_lshlrev_b32_e32 v19, v19, v24
	v_and_or_b32 v20, 0x8000, v21, v20
	s_delay_alu instid0(VALU_DEP_4)
	s_or_b32 vcc_lo, s0, vcc_lo
	s_wait_alu 0xfffe
	v_add_co_ci_u32_e32 v15, vcc_lo, 0, v15, vcc_lo
	v_cmp_ne_u32_e64 s1, v19, v18
	v_cmp_ne_u32_e32 vcc_lo, 0, v10
	v_add_nc_u32_e32 v19, 0xfffffc10, v22
	v_mul_f64_e32 v[12:13], s[6:7], v[12:13]
	s_wait_alu 0xf1ff
	v_cndmask_b32_e64 v18, 0, 1, s1
	s_wait_alu 0xfffd
	v_cndmask_b32_e64 v10, 0, 1, vcc_lo
	v_cmp_gt_i32_e32 vcc_lo, 31, v16
	v_lshl_or_b32 v21, v19, 12, v6
	v_or_b32_e32 v18, v24, v18
	s_delay_alu instid0(VALU_DEP_4)
	v_lshl_or_b32 v10, v10, 9, 0x7c00
	s_wait_alu 0xfffd
	v_cndmask_b32_e32 v15, 0x7c00, v15, vcc_lo
	v_cmp_gt_i32_e32 vcc_lo, 1, v19
	v_and_or_b32 v4, 0x1ff, v5, v4
	s_wait_alu 0xfffd
	v_cndmask_b32_e32 v18, v21, v18, vcc_lo
	v_cmp_eq_u32_e32 vcc_lo, 0x40f, v16
	v_lshrrev_b32_e32 v16, 8, v5
	v_mul_f64_e32 v[8:9], s[6:7], v[8:9]
	v_bfe_u32 v21, v5, 20, 11
	v_lshrrev_b32_e32 v5, 16, v5
	s_wait_alu 0xfffd
	v_cndmask_b32_e32 v10, v15, v10, vcc_lo
	v_cmp_ne_u32_e32 vcc_lo, 0, v4
	s_delay_alu instid0(VALU_DEP_2) | instskip(SKIP_4) | instid1(VALU_DEP_3)
	v_and_or_b32 v10, 0x8000, v11, v10
	v_and_b32_e32 v11, 0xffff, v20
	v_and_b32_e32 v15, 7, v18
	s_wait_alu 0xfffd
	v_cndmask_b32_e64 v4, 0, 1, vcc_lo
	v_lshl_or_b32 v10, v10, 16, v11
	s_delay_alu instid0(VALU_DEP_3)
	v_cmp_lt_i32_e32 vcc_lo, 5, v15
	v_cmp_eq_u32_e64 s0, 3, v15
	v_lshrrev_b32_e32 v11, 2, v18
	v_and_or_b32 v4, 0xffe, v16, v4
	v_sub_nc_u32_e32 v16, 0x3f1, v21
	v_and_or_b32 v12, 0x1ff, v13, v12
	s_or_b32 vcc_lo, s0, vcc_lo
	v_lshrrev_b32_e32 v20, 8, v13
	s_wait_alu 0xfffe
	v_add_co_ci_u32_e32 v11, vcc_lo, 0, v11, vcc_lo
	v_or_b32_e32 v15, 0x1000, v4
	v_med3_i32 v16, v16, 0, 13
	v_cmp_ne_u32_e32 vcc_lo, 0, v6
	v_bfe_u32 v22, v13, 20, 11
	s_delay_alu instid0(VALU_DEP_3) | instskip(SKIP_3) | instid1(VALU_DEP_3)
	v_lshrrev_b32_e32 v18, v16, v15
	s_wait_alu 0xfffd
	v_cndmask_b32_e64 v6, 0, 1, vcc_lo
	v_cmp_gt_i32_e32 vcc_lo, 31, v19
	v_lshlrev_b32_e32 v16, v16, v18
	s_delay_alu instid0(VALU_DEP_3)
	v_lshl_or_b32 v6, v6, 9, 0x7c00
	s_wait_alu 0xfffd
	v_cndmask_b32_e32 v11, 0x7c00, v11, vcc_lo
	v_cmp_ne_u32_e32 vcc_lo, 0, v12
	v_and_or_b32 v8, 0x1ff, v9, v8
	s_wait_alu 0xfffd
	v_cndmask_b32_e64 v12, 0, 1, vcc_lo
	v_cmp_ne_u32_e32 vcc_lo, v16, v15
	v_add_nc_u32_e32 v16, 0xfffffc10, v21
	v_bfe_u32 v21, v9, 20, 11
	s_delay_alu instid0(VALU_DEP_4) | instskip(SKIP_4) | instid1(VALU_DEP_2)
	v_and_or_b32 v12, 0xffe, v20, v12
	s_wait_alu 0xfffd
	v_cndmask_b32_e64 v15, 0, 1, vcc_lo
	v_sub_nc_u32_e32 v20, 0x3f1, v22
	v_cmp_eq_u32_e32 vcc_lo, 0x40f, v19
	v_med3_i32 v19, v20, 0, 13
	s_wait_alu 0xfffd
	v_cndmask_b32_e32 v6, v11, v6, vcc_lo
	v_or_b32_e32 v11, v18, v15
	v_lshl_or_b32 v15, v16, 12, v4
	v_or_b32_e32 v18, 0x1000, v12
	v_cmp_gt_i32_e32 vcc_lo, 1, v16
	v_lshrrev_b32_e32 v20, 8, v9
	v_and_or_b32 v6, 0x8000, v7, v6
	s_wait_alu 0xfffd
	v_cndmask_b32_e32 v11, v15, v11, vcc_lo
	v_lshrrev_b32_e32 v15, v19, v18
	v_cmp_ne_u32_e32 vcc_lo, 0, v8
	v_and_b32_e32 v6, 0xffff, v6
	s_delay_alu instid0(VALU_DEP_4) | instskip(NEXT) | instid1(VALU_DEP_4)
	v_and_b32_e32 v23, 7, v11
	v_lshlrev_b32_e32 v19, v19, v15
	s_wait_alu 0xfffd
	v_cndmask_b32_e64 v8, 0, 1, vcc_lo
	v_lshrrev_b32_e32 v11, 2, v11
	v_cmp_lt_i32_e32 vcc_lo, 5, v23
	v_cmp_ne_u32_e64 s0, v19, v18
	s_delay_alu instid0(VALU_DEP_4)
	v_and_or_b32 v7, 0xffe, v20, v8
	v_sub_nc_u32_e32 v8, 0x3f1, v21
	v_add_nc_u32_e32 v20, 0xfffffc10, v22
	s_wait_alu 0xf1ff
	v_cndmask_b32_e64 v18, 0, 1, s0
	v_cmp_eq_u32_e64 s0, 3, v23
	v_or_b32_e32 v19, 0x1000, v7
	v_med3_i32 v8, v8, 0, 13
	v_lshl_or_b32 v22, v20, 12, v12
	v_or_b32_e32 v15, v15, v18
	s_or_b32 vcc_lo, s0, vcc_lo
	s_wait_alu 0xfffe
	v_add_co_ci_u32_e32 v11, vcc_lo, 0, v11, vcc_lo
	v_lshrrev_b32_e32 v18, v8, v19
	v_cmp_gt_i32_e32 vcc_lo, 1, v20
	s_wait_alu 0xfffd
	s_delay_alu instid0(VALU_DEP_2) | instskip(SKIP_3) | instid1(VALU_DEP_3)
	v_dual_cndmask_b32 v15, v22, v15 :: v_dual_lshlrev_b32 v8, v8, v18
	v_cmp_ne_u32_e32 vcc_lo, 0, v4
	s_wait_alu 0xfffd
	v_cndmask_b32_e64 v4, 0, 1, vcc_lo
	v_cmp_ne_u32_e32 vcc_lo, v8, v19
	v_add_nc_u32_e32 v19, 0xfffffc10, v21
	v_and_b32_e32 v21, 7, v15
	s_delay_alu instid0(VALU_DEP_4)
	v_lshl_or_b32 v4, v4, 9, 0x7c00
	s_wait_alu 0xfffd
	v_cndmask_b32_e64 v8, 0, 1, vcc_lo
	v_cmp_gt_i32_e32 vcc_lo, 31, v16
	v_cmp_gt_i32_e64 s1, 1, v19
	v_cmp_eq_u32_e64 s0, 3, v21
	s_delay_alu instid0(VALU_DEP_4)
	v_or_b32_e32 v8, v18, v8
	v_lshl_or_b32 v18, v19, 12, v7
	s_wait_alu 0xfffd
	v_cndmask_b32_e32 v11, 0x7c00, v11, vcc_lo
	v_cmp_lt_i32_e32 vcc_lo, 5, v21
	s_wait_alu 0xf1ff
	v_cndmask_b32_e64 v8, v18, v8, s1
	v_cmp_eq_u32_e64 s1, 0x40f, v16
	s_or_b32 vcc_lo, s0, vcc_lo
	s_delay_alu instid0(VALU_DEP_1)
	v_cndmask_b32_e64 v4, v11, v4, s1
	v_lshrrev_b32_e32 v11, 2, v15
	v_and_b32_e32 v15, 7, v8
	v_lshrrev_b32_e32 v8, 2, v8
	v_cmp_gt_i32_e64 s1, 31, v20
	s_wait_alu 0xfffe
	v_add_co_ci_u32_e32 v11, vcc_lo, 0, v11, vcc_lo
	v_cmp_ne_u32_e32 vcc_lo, 0, v12
	v_cmp_eq_u32_e64 s0, 3, v15
	s_wait_alu 0xf1ff
	s_delay_alu instid0(VALU_DEP_3) | instskip(SKIP_3) | instid1(VALU_DEP_2)
	v_cndmask_b32_e64 v11, 0x7c00, v11, s1
	s_wait_alu 0xfffd
	v_cndmask_b32_e64 v12, 0, 1, vcc_lo
	v_cmp_lt_i32_e32 vcc_lo, 5, v15
	v_lshl_or_b32 v12, v12, 9, 0x7c00
	s_or_b32 vcc_lo, s0, vcc_lo
	s_wait_alu 0xfffe
	v_add_co_ci_u32_e32 v8, vcc_lo, 0, v8, vcc_lo
	v_cmp_ne_u32_e32 vcc_lo, 0, v7
	s_wait_alu 0xfffd
	v_cndmask_b32_e64 v7, 0, 1, vcc_lo
	v_cmp_eq_u32_e32 vcc_lo, 0x40f, v20
	s_delay_alu instid0(VALU_DEP_2)
	v_lshl_or_b32 v7, v7, 9, 0x7c00
	s_wait_alu 0xfffd
	v_cndmask_b32_e32 v11, v11, v12, vcc_lo
	v_cmp_gt_i32_e32 vcc_lo, 31, v19
	v_lshrrev_b32_e32 v12, 16, v13
	v_and_or_b32 v13, 0x8000, v5, v4
	s_wait_alu 0xfffd
	v_cndmask_b32_e32 v8, 0x7c00, v8, vcc_lo
	v_cmp_eq_u32_e32 vcc_lo, 0x40f, v19
	v_and_or_b32 v11, 0x8000, v12, v11
	v_lshl_or_b32 v12, v13, 16, v6
	s_wait_alu 0xfffd
	v_cndmask_b32_e32 v7, v8, v7, vcc_lo
	v_lshrrev_b32_e32 v8, 16, v9
	v_add_co_u32 v4, vcc_lo, v2, s2
	s_wait_alu 0xfffd
	v_add_co_ci_u32_e32 v5, vcc_lo, s3, v3, vcc_lo
	s_delay_alu instid0(VALU_DEP_3) | instskip(SKIP_4) | instid1(VALU_DEP_3)
	v_and_or_b32 v8, 0x8000, v8, v7
	v_and_b32_e32 v9, 0xffff, v11
	v_add_co_u32 v6, vcc_lo, v4, s2
	s_wait_alu 0xfffd
	v_add_co_ci_u32_e32 v7, vcc_lo, s3, v5, vcc_lo
	v_lshl_or_b32 v11, v8, 16, v9
	s_delay_alu instid0(VALU_DEP_3) | instskip(SKIP_1) | instid1(VALU_DEP_3)
	v_add_co_u32 v8, vcc_lo, v6, s2
	s_wait_alu 0xfffd
	v_add_co_ci_u32_e32 v9, vcc_lo, s3, v7, vcc_lo
	global_store_b32 v[0:1], v14, off
	global_store_b32 v[2:3], v17, off
	;; [unrolled: 1-line block ×5, first 2 shown]
.LBB0_10:
	s_nop 0
	s_sendmsg sendmsg(MSG_DEALLOC_VGPRS)
	s_endpgm
	.section	.rodata,"a",@progbits
	.p2align	6, 0x0
	.amdhsa_kernel bluestein_single_fwd_len850_dim1_half_op_CI_CI
		.amdhsa_group_segment_fixed_size 3400
		.amdhsa_private_segment_fixed_size 8
		.amdhsa_kernarg_size 104
		.amdhsa_user_sgpr_count 2
		.amdhsa_user_sgpr_dispatch_ptr 0
		.amdhsa_user_sgpr_queue_ptr 0
		.amdhsa_user_sgpr_kernarg_segment_ptr 1
		.amdhsa_user_sgpr_dispatch_id 0
		.amdhsa_user_sgpr_private_segment_size 0
		.amdhsa_wavefront_size32 1
		.amdhsa_uses_dynamic_stack 0
		.amdhsa_enable_private_segment 1
		.amdhsa_system_sgpr_workgroup_id_x 1
		.amdhsa_system_sgpr_workgroup_id_y 0
		.amdhsa_system_sgpr_workgroup_id_z 0
		.amdhsa_system_sgpr_workgroup_info 0
		.amdhsa_system_vgpr_workitem_id 0
		.amdhsa_next_free_vgpr 256
		.amdhsa_next_free_sgpr 20
		.amdhsa_reserve_vcc 1
		.amdhsa_float_round_mode_32 0
		.amdhsa_float_round_mode_16_64 0
		.amdhsa_float_denorm_mode_32 3
		.amdhsa_float_denorm_mode_16_64 3
		.amdhsa_fp16_overflow 0
		.amdhsa_workgroup_processor_mode 1
		.amdhsa_memory_ordered 1
		.amdhsa_forward_progress 0
		.amdhsa_round_robin_scheduling 0
		.amdhsa_exception_fp_ieee_invalid_op 0
		.amdhsa_exception_fp_denorm_src 0
		.amdhsa_exception_fp_ieee_div_zero 0
		.amdhsa_exception_fp_ieee_overflow 0
		.amdhsa_exception_fp_ieee_underflow 0
		.amdhsa_exception_fp_ieee_inexact 0
		.amdhsa_exception_int_div_zero 0
	.end_amdhsa_kernel
	.text
.Lfunc_end0:
	.size	bluestein_single_fwd_len850_dim1_half_op_CI_CI, .Lfunc_end0-bluestein_single_fwd_len850_dim1_half_op_CI_CI
                                        ; -- End function
	.section	.AMDGPU.csdata,"",@progbits
; Kernel info:
; codeLenInByte = 28436
; NumSgprs: 22
; NumVgprs: 256
; ScratchSize: 8
; MemoryBound: 0
; FloatMode: 240
; IeeeMode: 1
; LDSByteSize: 3400 bytes/workgroup (compile time only)
; SGPRBlocks: 2
; VGPRBlocks: 31
; NumSGPRsForWavesPerEU: 22
; NumVGPRsForWavesPerEU: 256
; Occupancy: 5
; WaveLimiterHint : 1
; COMPUTE_PGM_RSRC2:SCRATCH_EN: 1
; COMPUTE_PGM_RSRC2:USER_SGPR: 2
; COMPUTE_PGM_RSRC2:TRAP_HANDLER: 0
; COMPUTE_PGM_RSRC2:TGID_X_EN: 1
; COMPUTE_PGM_RSRC2:TGID_Y_EN: 0
; COMPUTE_PGM_RSRC2:TGID_Z_EN: 0
; COMPUTE_PGM_RSRC2:TIDIG_COMP_CNT: 0
	.text
	.p2alignl 7, 3214868480
	.fill 96, 4, 3214868480
	.type	__hip_cuid_76d65d5504b0546b,@object ; @__hip_cuid_76d65d5504b0546b
	.section	.bss,"aw",@nobits
	.globl	__hip_cuid_76d65d5504b0546b
__hip_cuid_76d65d5504b0546b:
	.byte	0                               ; 0x0
	.size	__hip_cuid_76d65d5504b0546b, 1

	.ident	"AMD clang version 19.0.0git (https://github.com/RadeonOpenCompute/llvm-project roc-6.4.0 25133 c7fe45cf4b819c5991fe208aaa96edf142730f1d)"
	.section	".note.GNU-stack","",@progbits
	.addrsig
	.addrsig_sym __hip_cuid_76d65d5504b0546b
	.amdgpu_metadata
---
amdhsa.kernels:
  - .args:
      - .actual_access:  read_only
        .address_space:  global
        .offset:         0
        .size:           8
        .value_kind:     global_buffer
      - .actual_access:  read_only
        .address_space:  global
        .offset:         8
        .size:           8
        .value_kind:     global_buffer
      - .actual_access:  read_only
        .address_space:  global
        .offset:         16
        .size:           8
        .value_kind:     global_buffer
      - .actual_access:  read_only
        .address_space:  global
        .offset:         24
        .size:           8
        .value_kind:     global_buffer
      - .actual_access:  read_only
        .address_space:  global
        .offset:         32
        .size:           8
        .value_kind:     global_buffer
      - .offset:         40
        .size:           8
        .value_kind:     by_value
      - .address_space:  global
        .offset:         48
        .size:           8
        .value_kind:     global_buffer
      - .address_space:  global
        .offset:         56
        .size:           8
        .value_kind:     global_buffer
      - .address_space:  global
        .offset:         64
        .size:           8
        .value_kind:     global_buffer
      - .address_space:  global
        .offset:         72
        .size:           8
        .value_kind:     global_buffer
      - .offset:         80
        .size:           4
        .value_kind:     by_value
      - .address_space:  global
        .offset:         88
        .size:           8
        .value_kind:     global_buffer
      - .address_space:  global
        .offset:         96
        .size:           8
        .value_kind:     global_buffer
    .group_segment_fixed_size: 3400
    .kernarg_segment_align: 8
    .kernarg_segment_size: 104
    .language:       OpenCL C
    .language_version:
      - 2
      - 0
    .max_flat_workgroup_size: 85
    .name:           bluestein_single_fwd_len850_dim1_half_op_CI_CI
    .private_segment_fixed_size: 8
    .sgpr_count:     22
    .sgpr_spill_count: 0
    .symbol:         bluestein_single_fwd_len850_dim1_half_op_CI_CI.kd
    .uniform_work_group_size: 1
    .uses_dynamic_stack: false
    .vgpr_count:     256
    .vgpr_spill_count: 1
    .wavefront_size: 32
    .workgroup_processor_mode: 1
amdhsa.target:   amdgcn-amd-amdhsa--gfx1201
amdhsa.version:
  - 1
  - 2
...

	.end_amdgpu_metadata
